;; amdgpu-corpus repo=ROCm/rocFFT kind=compiled arch=gfx1201 opt=O3
	.text
	.amdgcn_target "amdgcn-amd-amdhsa--gfx1201"
	.amdhsa_code_object_version 6
	.protected	fft_rtc_back_len1512_factors_2_2_2_3_3_3_7_wgs_63_tpt_63_halfLds_dp_op_CI_CI_unitstride_sbrr_C2R_dirReg ; -- Begin function fft_rtc_back_len1512_factors_2_2_2_3_3_3_7_wgs_63_tpt_63_halfLds_dp_op_CI_CI_unitstride_sbrr_C2R_dirReg
	.globl	fft_rtc_back_len1512_factors_2_2_2_3_3_3_7_wgs_63_tpt_63_halfLds_dp_op_CI_CI_unitstride_sbrr_C2R_dirReg
	.p2align	8
	.type	fft_rtc_back_len1512_factors_2_2_2_3_3_3_7_wgs_63_tpt_63_halfLds_dp_op_CI_CI_unitstride_sbrr_C2R_dirReg,@function
fft_rtc_back_len1512_factors_2_2_2_3_3_3_7_wgs_63_tpt_63_halfLds_dp_op_CI_CI_unitstride_sbrr_C2R_dirReg: ; @fft_rtc_back_len1512_factors_2_2_2_3_3_3_7_wgs_63_tpt_63_halfLds_dp_op_CI_CI_unitstride_sbrr_C2R_dirReg
; %bb.0:
	s_clause 0x2
	s_load_b128 s[8:11], s[0:1], 0x0
	s_load_b128 s[4:7], s[0:1], 0x58
	;; [unrolled: 1-line block ×3, first 2 shown]
	v_mul_u32_u24_e32 v1, 0x411, v0
	v_mov_b32_e32 v3, 0
	s_delay_alu instid0(VALU_DEP_2) | instskip(NEXT) | instid1(VALU_DEP_1)
	v_lshrrev_b32_e32 v1, 16, v1
	v_add_nc_u32_e32 v5, ttmp9, v1
	v_mov_b32_e32 v1, 0
	v_mov_b32_e32 v2, 0
	;; [unrolled: 1-line block ×3, first 2 shown]
	s_wait_kmcnt 0x0
	v_cmp_lt_u64_e64 s2, s[10:11], 2
	s_delay_alu instid0(VALU_DEP_1)
	s_and_b32 vcc_lo, exec_lo, s2
	s_cbranch_vccnz .LBB0_8
; %bb.1:
	s_load_b64 s[2:3], s[0:1], 0x10
	v_mov_b32_e32 v1, 0
	v_mov_b32_e32 v2, 0
	s_add_nc_u64 s[16:17], s[14:15], 8
	s_add_nc_u64 s[18:19], s[12:13], 8
	s_mov_b64 s[20:21], 1
	s_delay_alu instid0(VALU_DEP_1)
	v_dual_mov_b32 v115, v2 :: v_dual_mov_b32 v114, v1
	s_wait_kmcnt 0x0
	s_add_nc_u64 s[22:23], s[2:3], 8
	s_mov_b32 s3, 0
.LBB0_2:                                ; =>This Inner Loop Header: Depth=1
	s_load_b64 s[24:25], s[22:23], 0x0
                                        ; implicit-def: $vgpr116_vgpr117
	s_mov_b32 s2, exec_lo
	s_wait_kmcnt 0x0
	v_or_b32_e32 v4, s25, v6
	s_delay_alu instid0(VALU_DEP_1)
	v_cmpx_ne_u64_e32 0, v[3:4]
	s_wait_alu 0xfffe
	s_xor_b32 s26, exec_lo, s2
	s_cbranch_execz .LBB0_4
; %bb.3:                                ;   in Loop: Header=BB0_2 Depth=1
	s_cvt_f32_u32 s2, s24
	s_cvt_f32_u32 s27, s25
	s_sub_nc_u64 s[30:31], 0, s[24:25]
	s_wait_alu 0xfffe
	s_delay_alu instid0(SALU_CYCLE_1) | instskip(SKIP_1) | instid1(SALU_CYCLE_2)
	s_fmamk_f32 s2, s27, 0x4f800000, s2
	s_wait_alu 0xfffe
	v_s_rcp_f32 s2, s2
	s_delay_alu instid0(TRANS32_DEP_1) | instskip(SKIP_1) | instid1(SALU_CYCLE_2)
	s_mul_f32 s2, s2, 0x5f7ffffc
	s_wait_alu 0xfffe
	s_mul_f32 s27, s2, 0x2f800000
	s_wait_alu 0xfffe
	s_delay_alu instid0(SALU_CYCLE_2) | instskip(SKIP_1) | instid1(SALU_CYCLE_2)
	s_trunc_f32 s27, s27
	s_wait_alu 0xfffe
	s_fmamk_f32 s2, s27, 0xcf800000, s2
	s_cvt_u32_f32 s29, s27
	s_wait_alu 0xfffe
	s_delay_alu instid0(SALU_CYCLE_1) | instskip(SKIP_1) | instid1(SALU_CYCLE_2)
	s_cvt_u32_f32 s28, s2
	s_wait_alu 0xfffe
	s_mul_u64 s[34:35], s[30:31], s[28:29]
	s_wait_alu 0xfffe
	s_mul_hi_u32 s37, s28, s35
	s_mul_i32 s36, s28, s35
	s_mul_hi_u32 s2, s28, s34
	s_mul_i32 s33, s29, s34
	s_wait_alu 0xfffe
	s_add_nc_u64 s[36:37], s[2:3], s[36:37]
	s_mul_hi_u32 s27, s29, s34
	s_mul_hi_u32 s38, s29, s35
	s_add_co_u32 s2, s36, s33
	s_wait_alu 0xfffe
	s_add_co_ci_u32 s2, s37, s27
	s_mul_i32 s34, s29, s35
	s_add_co_ci_u32 s35, s38, 0
	s_wait_alu 0xfffe
	s_add_nc_u64 s[34:35], s[2:3], s[34:35]
	s_wait_alu 0xfffe
	v_add_co_u32 v4, s2, s28, s34
	s_delay_alu instid0(VALU_DEP_1) | instskip(SKIP_1) | instid1(VALU_DEP_1)
	s_cmp_lg_u32 s2, 0
	s_add_co_ci_u32 s29, s29, s35
	v_readfirstlane_b32 s28, v4
	s_wait_alu 0xfffe
	s_delay_alu instid0(VALU_DEP_1)
	s_mul_u64 s[30:31], s[30:31], s[28:29]
	s_wait_alu 0xfffe
	s_mul_hi_u32 s35, s28, s31
	s_mul_i32 s34, s28, s31
	s_mul_hi_u32 s2, s28, s30
	s_mul_i32 s33, s29, s30
	s_wait_alu 0xfffe
	s_add_nc_u64 s[34:35], s[2:3], s[34:35]
	s_mul_hi_u32 s27, s29, s30
	s_mul_hi_u32 s28, s29, s31
	s_wait_alu 0xfffe
	s_add_co_u32 s2, s34, s33
	s_add_co_ci_u32 s2, s35, s27
	s_mul_i32 s30, s29, s31
	s_add_co_ci_u32 s31, s28, 0
	s_wait_alu 0xfffe
	s_add_nc_u64 s[30:31], s[2:3], s[30:31]
	s_wait_alu 0xfffe
	v_add_co_u32 v4, s2, v4, s30
	s_delay_alu instid0(VALU_DEP_1) | instskip(SKIP_1) | instid1(VALU_DEP_1)
	s_cmp_lg_u32 s2, 0
	s_add_co_ci_u32 s2, s29, s31
	v_mul_hi_u32 v13, v5, v4
	s_wait_alu 0xfffe
	v_mad_co_u64_u32 v[7:8], null, v5, s2, 0
	v_mad_co_u64_u32 v[9:10], null, v6, v4, 0
	;; [unrolled: 1-line block ×3, first 2 shown]
	s_delay_alu instid0(VALU_DEP_3) | instskip(SKIP_1) | instid1(VALU_DEP_4)
	v_add_co_u32 v4, vcc_lo, v13, v7
	s_wait_alu 0xfffd
	v_add_co_ci_u32_e32 v7, vcc_lo, 0, v8, vcc_lo
	s_delay_alu instid0(VALU_DEP_2) | instskip(SKIP_1) | instid1(VALU_DEP_2)
	v_add_co_u32 v4, vcc_lo, v4, v9
	s_wait_alu 0xfffd
	v_add_co_ci_u32_e32 v4, vcc_lo, v7, v10, vcc_lo
	s_wait_alu 0xfffd
	v_add_co_ci_u32_e32 v7, vcc_lo, 0, v12, vcc_lo
	s_delay_alu instid0(VALU_DEP_2) | instskip(SKIP_1) | instid1(VALU_DEP_2)
	v_add_co_u32 v4, vcc_lo, v4, v11
	s_wait_alu 0xfffd
	v_add_co_ci_u32_e32 v9, vcc_lo, 0, v7, vcc_lo
	s_delay_alu instid0(VALU_DEP_2) | instskip(SKIP_1) | instid1(VALU_DEP_3)
	v_mul_lo_u32 v10, s25, v4
	v_mad_co_u64_u32 v[7:8], null, s24, v4, 0
	v_mul_lo_u32 v11, s24, v9
	s_delay_alu instid0(VALU_DEP_2) | instskip(NEXT) | instid1(VALU_DEP_2)
	v_sub_co_u32 v7, vcc_lo, v5, v7
	v_add3_u32 v8, v8, v11, v10
	s_delay_alu instid0(VALU_DEP_1) | instskip(SKIP_1) | instid1(VALU_DEP_1)
	v_sub_nc_u32_e32 v10, v6, v8
	s_wait_alu 0xfffd
	v_subrev_co_ci_u32_e64 v10, s2, s25, v10, vcc_lo
	v_add_co_u32 v11, s2, v4, 2
	s_wait_alu 0xf1ff
	v_add_co_ci_u32_e64 v12, s2, 0, v9, s2
	v_sub_co_u32 v13, s2, v7, s24
	v_sub_co_ci_u32_e32 v8, vcc_lo, v6, v8, vcc_lo
	s_wait_alu 0xf1ff
	v_subrev_co_ci_u32_e64 v10, s2, 0, v10, s2
	s_delay_alu instid0(VALU_DEP_3) | instskip(NEXT) | instid1(VALU_DEP_3)
	v_cmp_le_u32_e32 vcc_lo, s24, v13
	v_cmp_eq_u32_e64 s2, s25, v8
	s_wait_alu 0xfffd
	v_cndmask_b32_e64 v13, 0, -1, vcc_lo
	v_cmp_le_u32_e32 vcc_lo, s25, v10
	s_wait_alu 0xfffd
	v_cndmask_b32_e64 v14, 0, -1, vcc_lo
	v_cmp_le_u32_e32 vcc_lo, s24, v7
	;; [unrolled: 3-line block ×3, first 2 shown]
	s_wait_alu 0xfffd
	v_cndmask_b32_e64 v15, 0, -1, vcc_lo
	v_cmp_eq_u32_e32 vcc_lo, s25, v10
	s_wait_alu 0xf1ff
	s_delay_alu instid0(VALU_DEP_2)
	v_cndmask_b32_e64 v7, v15, v7, s2
	s_wait_alu 0xfffd
	v_cndmask_b32_e32 v10, v14, v13, vcc_lo
	v_add_co_u32 v13, vcc_lo, v4, 1
	s_wait_alu 0xfffd
	v_add_co_ci_u32_e32 v14, vcc_lo, 0, v9, vcc_lo
	s_delay_alu instid0(VALU_DEP_3) | instskip(SKIP_1) | instid1(VALU_DEP_2)
	v_cmp_ne_u32_e32 vcc_lo, 0, v10
	s_wait_alu 0xfffd
	v_cndmask_b32_e32 v8, v14, v12, vcc_lo
	v_cndmask_b32_e32 v10, v13, v11, vcc_lo
	v_cmp_ne_u32_e32 vcc_lo, 0, v7
	s_wait_alu 0xfffd
	s_delay_alu instid0(VALU_DEP_2)
	v_dual_cndmask_b32 v117, v9, v8 :: v_dual_cndmask_b32 v116, v4, v10
.LBB0_4:                                ;   in Loop: Header=BB0_2 Depth=1
	s_wait_alu 0xfffe
	s_and_not1_saveexec_b32 s2, s26
	s_cbranch_execz .LBB0_6
; %bb.5:                                ;   in Loop: Header=BB0_2 Depth=1
	v_cvt_f32_u32_e32 v4, s24
	s_sub_co_i32 s26, 0, s24
	v_mov_b32_e32 v117, v3
	s_delay_alu instid0(VALU_DEP_2) | instskip(NEXT) | instid1(TRANS32_DEP_1)
	v_rcp_iflag_f32_e32 v4, v4
	v_mul_f32_e32 v4, 0x4f7ffffe, v4
	s_delay_alu instid0(VALU_DEP_1) | instskip(SKIP_1) | instid1(VALU_DEP_1)
	v_cvt_u32_f32_e32 v4, v4
	s_wait_alu 0xfffe
	v_mul_lo_u32 v7, s26, v4
	s_delay_alu instid0(VALU_DEP_1) | instskip(NEXT) | instid1(VALU_DEP_1)
	v_mul_hi_u32 v7, v4, v7
	v_add_nc_u32_e32 v4, v4, v7
	s_delay_alu instid0(VALU_DEP_1) | instskip(NEXT) | instid1(VALU_DEP_1)
	v_mul_hi_u32 v4, v5, v4
	v_mul_lo_u32 v7, v4, s24
	v_add_nc_u32_e32 v8, 1, v4
	s_delay_alu instid0(VALU_DEP_2) | instskip(NEXT) | instid1(VALU_DEP_1)
	v_sub_nc_u32_e32 v7, v5, v7
	v_subrev_nc_u32_e32 v9, s24, v7
	v_cmp_le_u32_e32 vcc_lo, s24, v7
	s_wait_alu 0xfffd
	s_delay_alu instid0(VALU_DEP_2) | instskip(NEXT) | instid1(VALU_DEP_1)
	v_dual_cndmask_b32 v7, v7, v9 :: v_dual_cndmask_b32 v4, v4, v8
	v_cmp_le_u32_e32 vcc_lo, s24, v7
	s_delay_alu instid0(VALU_DEP_2) | instskip(SKIP_1) | instid1(VALU_DEP_1)
	v_add_nc_u32_e32 v8, 1, v4
	s_wait_alu 0xfffd
	v_cndmask_b32_e32 v116, v4, v8, vcc_lo
.LBB0_6:                                ;   in Loop: Header=BB0_2 Depth=1
	s_wait_alu 0xfffe
	s_or_b32 exec_lo, exec_lo, s2
	v_mul_lo_u32 v4, v117, s24
	s_delay_alu instid0(VALU_DEP_2)
	v_mul_lo_u32 v9, v116, s25
	s_load_b64 s[26:27], s[18:19], 0x0
	v_mad_co_u64_u32 v[7:8], null, v116, s24, 0
	s_load_b64 s[24:25], s[16:17], 0x0
	s_add_nc_u64 s[20:21], s[20:21], 1
	s_add_nc_u64 s[16:17], s[16:17], 8
	s_wait_alu 0xfffe
	v_cmp_ge_u64_e64 s2, s[20:21], s[10:11]
	s_add_nc_u64 s[18:19], s[18:19], 8
	s_add_nc_u64 s[22:23], s[22:23], 8
	v_add3_u32 v4, v8, v9, v4
	v_sub_co_u32 v5, vcc_lo, v5, v7
	s_wait_alu 0xfffd
	s_delay_alu instid0(VALU_DEP_2) | instskip(SKIP_2) | instid1(VALU_DEP_1)
	v_sub_co_ci_u32_e32 v4, vcc_lo, v6, v4, vcc_lo
	s_and_b32 vcc_lo, exec_lo, s2
	s_wait_kmcnt 0x0
	v_mul_lo_u32 v6, s26, v4
	v_mul_lo_u32 v7, s27, v5
	v_mad_co_u64_u32 v[1:2], null, s26, v5, v[1:2]
	v_mul_lo_u32 v4, s24, v4
	v_mul_lo_u32 v8, s25, v5
	v_mad_co_u64_u32 v[114:115], null, s24, v5, v[114:115]
	s_delay_alu instid0(VALU_DEP_4) | instskip(NEXT) | instid1(VALU_DEP_2)
	v_add3_u32 v2, v7, v2, v6
	v_add3_u32 v115, v8, v115, v4
	s_wait_alu 0xfffe
	s_cbranch_vccnz .LBB0_9
; %bb.7:                                ;   in Loop: Header=BB0_2 Depth=1
	v_dual_mov_b32 v5, v116 :: v_dual_mov_b32 v6, v117
	s_branch .LBB0_2
.LBB0_8:
	v_dual_mov_b32 v115, v2 :: v_dual_mov_b32 v114, v1
	v_dual_mov_b32 v117, v6 :: v_dual_mov_b32 v116, v5
.LBB0_9:
	s_load_b64 s[0:1], s[0:1], 0x28
	v_mul_hi_u32 v3, 0x4104105, v0
	s_lshl_b64 s[10:11], s[10:11], 3
                                        ; implicit-def: $vgpr112
	s_wait_alu 0xfffe
	s_add_nc_u64 s[2:3], s[14:15], s[10:11]
	s_wait_kmcnt 0x0
	v_cmp_gt_u64_e32 vcc_lo, s[0:1], v[116:117]
	v_cmp_le_u64_e64 s0, s[0:1], v[116:117]
	s_delay_alu instid0(VALU_DEP_1)
	s_and_saveexec_b32 s1, s0
	s_wait_alu 0xfffe
	s_xor_b32 s0, exec_lo, s1
; %bb.10:
	v_mul_u32_u24_e32 v1, 63, v3
                                        ; implicit-def: $vgpr3
	s_delay_alu instid0(VALU_DEP_1)
	v_sub_nc_u32_e32 v112, v0, v1
                                        ; implicit-def: $vgpr0
                                        ; implicit-def: $vgpr1_vgpr2
; %bb.11:
	s_wait_alu 0xfffe
	s_or_saveexec_b32 s1, s0
	s_load_b64 s[2:3], s[2:3], 0x0
	s_xor_b32 exec_lo, exec_lo, s1
	s_cbranch_execz .LBB0_15
; %bb.12:
	s_add_nc_u64 s[10:11], s[12:13], s[10:11]
	v_lshlrev_b64_e32 v[1:2], 4, v[1:2]
	s_load_b64 s[10:11], s[10:11], 0x0
	s_wait_kmcnt 0x0
	v_mul_lo_u32 v6, s11, v116
	v_mul_lo_u32 v7, s10, v117
	v_mad_co_u64_u32 v[4:5], null, s10, v116, 0
	s_delay_alu instid0(VALU_DEP_1) | instskip(SKIP_1) | instid1(VALU_DEP_2)
	v_add3_u32 v5, v5, v7, v6
	v_mul_u32_u24_e32 v6, 63, v3
	v_lshlrev_b64_e32 v[3:4], 4, v[4:5]
	s_delay_alu instid0(VALU_DEP_2) | instskip(NEXT) | instid1(VALU_DEP_1)
	v_sub_nc_u32_e32 v112, v0, v6
	v_lshlrev_b32_e32 v98, 4, v112
	s_delay_alu instid0(VALU_DEP_3) | instskip(SKIP_1) | instid1(VALU_DEP_4)
	v_add_co_u32 v0, s0, s4, v3
	s_wait_alu 0xf1ff
	v_add_co_ci_u32_e64 v3, s0, s5, v4, s0
	s_delay_alu instid0(VALU_DEP_2) | instskip(SKIP_1) | instid1(VALU_DEP_2)
	v_add_co_u32 v0, s0, v0, v1
	s_wait_alu 0xf1ff
	v_add_co_ci_u32_e64 v1, s0, v3, v2, s0
	s_delay_alu instid0(VALU_DEP_2) | instskip(SKIP_1) | instid1(VALU_DEP_2)
	v_add_co_u32 v94, s0, v0, v98
	s_wait_alu 0xf1ff
	v_add_co_ci_u32_e64 v95, s0, 0, v1, s0
	s_clause 0x17
	global_load_b128 v[2:5], v[94:95], off
	global_load_b128 v[6:9], v[94:95], off offset:1008
	global_load_b128 v[10:13], v[94:95], off offset:2016
	global_load_b128 v[14:17], v[94:95], off offset:3024
	global_load_b128 v[18:21], v[94:95], off offset:4032
	global_load_b128 v[22:25], v[94:95], off offset:5040
	global_load_b128 v[26:29], v[94:95], off offset:6048
	global_load_b128 v[30:33], v[94:95], off offset:7056
	global_load_b128 v[34:37], v[94:95], off offset:8064
	global_load_b128 v[38:41], v[94:95], off offset:9072
	global_load_b128 v[42:45], v[94:95], off offset:10080
	global_load_b128 v[46:49], v[94:95], off offset:11088
	global_load_b128 v[50:53], v[94:95], off offset:12096
	global_load_b128 v[54:57], v[94:95], off offset:13104
	global_load_b128 v[58:61], v[94:95], off offset:14112
	global_load_b128 v[62:65], v[94:95], off offset:15120
	global_load_b128 v[66:69], v[94:95], off offset:16128
	global_load_b128 v[70:73], v[94:95], off offset:17136
	global_load_b128 v[74:77], v[94:95], off offset:18144
	global_load_b128 v[78:81], v[94:95], off offset:19152
	global_load_b128 v[82:85], v[94:95], off offset:20160
	global_load_b128 v[86:89], v[94:95], off offset:21168
	global_load_b128 v[90:93], v[94:95], off offset:22176
	global_load_b128 v[94:97], v[94:95], off offset:23184
	v_add_nc_u32_e32 v98, 0, v98
	v_cmp_eq_u32_e64 s0, 62, v112
	s_wait_loadcnt 0x17
	ds_store_b128 v98, v[2:5]
	s_wait_loadcnt 0x16
	ds_store_b128 v98, v[6:9] offset:1008
	s_wait_loadcnt 0x15
	ds_store_b128 v98, v[10:13] offset:2016
	s_wait_loadcnt 0x14
	ds_store_b128 v98, v[14:17] offset:3024
	s_wait_loadcnt 0x13
	ds_store_b128 v98, v[18:21] offset:4032
	s_wait_loadcnt 0x12
	ds_store_b128 v98, v[22:25] offset:5040
	s_wait_loadcnt 0x11
	ds_store_b128 v98, v[26:29] offset:6048
	s_wait_loadcnt 0x10
	ds_store_b128 v98, v[30:33] offset:7056
	s_wait_loadcnt 0xf
	ds_store_b128 v98, v[34:37] offset:8064
	s_wait_loadcnt 0xe
	ds_store_b128 v98, v[38:41] offset:9072
	s_wait_loadcnt 0xd
	ds_store_b128 v98, v[42:45] offset:10080
	s_wait_loadcnt 0xc
	ds_store_b128 v98, v[46:49] offset:11088
	s_wait_loadcnt 0xb
	ds_store_b128 v98, v[50:53] offset:12096
	s_wait_loadcnt 0xa
	ds_store_b128 v98, v[54:57] offset:13104
	s_wait_loadcnt 0x9
	ds_store_b128 v98, v[58:61] offset:14112
	s_wait_loadcnt 0x8
	ds_store_b128 v98, v[62:65] offset:15120
	s_wait_loadcnt 0x7
	ds_store_b128 v98, v[66:69] offset:16128
	s_wait_loadcnt 0x6
	ds_store_b128 v98, v[70:73] offset:17136
	s_wait_loadcnt 0x5
	ds_store_b128 v98, v[74:77] offset:18144
	s_wait_loadcnt 0x4
	ds_store_b128 v98, v[78:81] offset:19152
	s_wait_loadcnt 0x3
	ds_store_b128 v98, v[82:85] offset:20160
	s_wait_loadcnt 0x2
	ds_store_b128 v98, v[86:89] offset:21168
	s_wait_loadcnt 0x1
	ds_store_b128 v98, v[90:93] offset:22176
	s_wait_loadcnt 0x0
	ds_store_b128 v98, v[94:97] offset:23184
	s_and_saveexec_b32 s4, s0
	s_cbranch_execz .LBB0_14
; %bb.13:
	global_load_b128 v[0:3], v[0:1], off offset:24192
	v_mov_b32_e32 v4, 0
	v_mov_b32_e32 v112, 62
	s_wait_loadcnt 0x0
	ds_store_b128 v4, v[0:3] offset:24192
.LBB0_14:
	s_wait_alu 0xfffe
	s_or_b32 exec_lo, exec_lo, s4
.LBB0_15:
	s_delay_alu instid0(SALU_CYCLE_1)
	s_or_b32 exec_lo, exec_lo, s1
	v_lshlrev_b32_e32 v0, 4, v112
	global_wb scope:SCOPE_SE
	s_wait_dscnt 0x0
	s_wait_kmcnt 0x0
	s_barrier_signal -1
	s_barrier_wait -1
	global_inv scope:SCOPE_SE
	v_add_nc_u32_e32 v118, 0, v0
	v_sub_nc_u32_e32 v10, 0, v0
	s_mov_b32 s1, exec_lo
                                        ; implicit-def: $vgpr4_vgpr5
	ds_load_b64 v[6:7], v118
	ds_load_b64 v[8:9], v10 offset:24192
	s_wait_dscnt 0x0
	v_add_f64_e32 v[0:1], v[6:7], v[8:9]
	v_add_f64_e64 v[2:3], v[6:7], -v[8:9]
	v_cmpx_ne_u32_e32 0, v112
	s_wait_alu 0xfffe
	s_xor_b32 s1, exec_lo, s1
	s_cbranch_execz .LBB0_17
; %bb.16:
	v_mov_b32_e32 v113, 0
	v_add_f64_e32 v[13:14], v[6:7], v[8:9]
	v_add_f64_e64 v[15:16], v[6:7], -v[8:9]
	s_delay_alu instid0(VALU_DEP_3) | instskip(NEXT) | instid1(VALU_DEP_1)
	v_lshlrev_b64_e32 v[0:1], 4, v[112:113]
	v_add_co_u32 v0, s0, s8, v0
	s_wait_alu 0xf1ff
	s_delay_alu instid0(VALU_DEP_2)
	v_add_co_ci_u32_e64 v1, s0, s9, v1, s0
	global_load_b128 v[2:5], v[0:1], off offset:24160
	ds_load_b64 v[0:1], v10 offset:24200
	ds_load_b64 v[11:12], v118 offset:8
	s_wait_dscnt 0x0
	v_add_f64_e32 v[6:7], v[0:1], v[11:12]
	v_add_f64_e64 v[0:1], v[11:12], -v[0:1]
	s_wait_loadcnt 0x0
	v_fma_f64 v[8:9], v[15:16], v[4:5], v[13:14]
	v_fma_f64 v[11:12], -v[15:16], v[4:5], v[13:14]
	s_delay_alu instid0(VALU_DEP_3) | instskip(SKIP_1) | instid1(VALU_DEP_4)
	v_fma_f64 v[13:14], v[6:7], v[4:5], -v[0:1]
	v_fma_f64 v[4:5], v[6:7], v[4:5], v[0:1]
	v_fma_f64 v[0:1], -v[6:7], v[2:3], v[8:9]
	s_delay_alu instid0(VALU_DEP_4) | instskip(NEXT) | instid1(VALU_DEP_4)
	v_fma_f64 v[6:7], v[6:7], v[2:3], v[11:12]
	v_fma_f64 v[8:9], v[15:16], v[2:3], v[13:14]
	s_delay_alu instid0(VALU_DEP_4)
	v_fma_f64 v[2:3], v[15:16], v[2:3], v[4:5]
	v_dual_mov_b32 v4, v112 :: v_dual_mov_b32 v5, v113
	ds_store_b128 v10, v[6:9] offset:24192
.LBB0_17:
	s_wait_alu 0xfffe
	s_and_not1_saveexec_b32 s0, s1
	s_cbranch_execz .LBB0_19
; %bb.18:
	v_mov_b32_e32 v8, 0
	ds_load_b128 v[4:7], v8 offset:12096
	s_wait_dscnt 0x0
	v_add_f64_e32 v[11:12], v[4:5], v[4:5]
	v_mul_f64_e32 v[13:14], -2.0, v[6:7]
	v_mov_b32_e32 v4, 0
	v_mov_b32_e32 v5, 0
	ds_store_b128 v8, v[11:14] offset:12096
.LBB0_19:
	s_wait_alu 0xfffe
	s_or_b32 exec_lo, exec_lo, s0
	v_lshlrev_b64_e32 v[4:5], 4, v[4:5]
	s_add_nc_u64 s[0:1], s[8:9], 0x5e60
	v_add_nc_u32_e32 v113, 0xbd, v112
	v_add_nc_u32_e32 v75, 63, v112
	;; [unrolled: 1-line block ×3, first 2 shown]
	v_lshl_add_u32 v48, v112, 5, 0
	s_wait_alu 0xfffe
	v_add_co_u32 v4, s0, s0, v4
	s_wait_alu 0xf1ff
	v_add_co_ci_u32_e64 v5, s0, s1, v5, s0
	v_add_nc_u32_e32 v70, 0xfc, v112
	v_add_nc_u32_e32 v72, 0x13b, v112
	;; [unrolled: 1-line block ×3, first 2 shown]
	s_clause 0x1
	global_load_b128 v[6:9], v[4:5], off offset:1008
	global_load_b128 v[11:14], v[4:5], off offset:2016
	ds_store_b128 v118, v[0:3]
	ds_load_b128 v[0:3], v118 offset:1008
	ds_load_b128 v[15:18], v10 offset:23184
	global_load_b128 v[19:22], v[4:5], off offset:3024
	v_add_nc_u32_e32 v73, 0x1b9, v112
	v_lshl_add_u32 v69, v70, 5, 0
	s_mov_b32 s4, 0xe8584caa
	s_mov_b32 s5, 0xbfebb67a
	;; [unrolled: 1-line block ×3, first 2 shown]
	s_wait_alu 0xfffe
	s_mov_b32 s10, s4
	v_cmp_gt_u32_e64 s0, 9, v112
	s_wait_dscnt 0x0
	v_add_f64_e32 v[23:24], v[0:1], v[15:16]
	v_add_f64_e32 v[25:26], v[17:18], v[2:3]
	v_add_f64_e64 v[27:28], v[0:1], -v[15:16]
	v_add_f64_e64 v[0:1], v[2:3], -v[17:18]
	s_wait_loadcnt 0x2
	s_delay_alu instid0(VALU_DEP_2) | instskip(NEXT) | instid1(VALU_DEP_2)
	v_fma_f64 v[2:3], v[27:28], v[8:9], v[23:24]
	v_fma_f64 v[15:16], v[25:26], v[8:9], v[0:1]
	v_fma_f64 v[17:18], -v[27:28], v[8:9], v[23:24]
	v_fma_f64 v[8:9], v[25:26], v[8:9], -v[0:1]
	s_delay_alu instid0(VALU_DEP_4) | instskip(NEXT) | instid1(VALU_DEP_4)
	v_fma_f64 v[0:1], -v[25:26], v[6:7], v[2:3]
	v_fma_f64 v[2:3], v[27:28], v[6:7], v[15:16]
	s_delay_alu instid0(VALU_DEP_4) | instskip(NEXT) | instid1(VALU_DEP_4)
	v_fma_f64 v[15:16], v[25:26], v[6:7], v[17:18]
	v_fma_f64 v[17:18], v[27:28], v[6:7], v[8:9]
	ds_store_b128 v118, v[0:3] offset:1008
	ds_store_b128 v10, v[15:18] offset:23184
	ds_load_b128 v[0:3], v118 offset:2016
	ds_load_b128 v[6:9], v10 offset:22176
	global_load_b128 v[15:18], v[4:5], off offset:4032
	s_wait_dscnt 0x0
	v_add_f64_e32 v[23:24], v[0:1], v[6:7]
	v_add_f64_e32 v[25:26], v[8:9], v[2:3]
	v_add_f64_e64 v[27:28], v[0:1], -v[6:7]
	v_add_f64_e64 v[0:1], v[2:3], -v[8:9]
	s_wait_loadcnt 0x2
	s_delay_alu instid0(VALU_DEP_2) | instskip(NEXT) | instid1(VALU_DEP_2)
	v_fma_f64 v[2:3], v[27:28], v[13:14], v[23:24]
	v_fma_f64 v[6:7], v[25:26], v[13:14], v[0:1]
	v_fma_f64 v[8:9], -v[27:28], v[13:14], v[23:24]
	v_fma_f64 v[13:14], v[25:26], v[13:14], -v[0:1]
	s_delay_alu instid0(VALU_DEP_4) | instskip(NEXT) | instid1(VALU_DEP_4)
	v_fma_f64 v[0:1], -v[25:26], v[11:12], v[2:3]
	v_fma_f64 v[2:3], v[27:28], v[11:12], v[6:7]
	s_delay_alu instid0(VALU_DEP_4) | instskip(NEXT) | instid1(VALU_DEP_4)
	v_fma_f64 v[6:7], v[25:26], v[11:12], v[8:9]
	v_fma_f64 v[8:9], v[27:28], v[11:12], v[13:14]
	ds_store_b128 v118, v[0:3] offset:2016
	ds_store_b128 v10, v[6:9] offset:22176
	ds_load_b128 v[0:3], v118 offset:3024
	ds_load_b128 v[6:9], v10 offset:21168
	global_load_b128 v[11:14], v[4:5], off offset:5040
	;; [unrolled: 22-line block ×8, first 2 shown]
	s_wait_dscnt 0x0
	v_add_f64_e32 v[4:5], v[0:1], v[6:7]
	v_add_f64_e32 v[23:24], v[8:9], v[2:3]
	v_add_f64_e64 v[6:7], v[0:1], -v[6:7]
	v_add_f64_e64 v[0:1], v[2:3], -v[8:9]
	s_wait_loadcnt 0x2
	s_delay_alu instid0(VALU_DEP_2) | instskip(NEXT) | instid1(VALU_DEP_2)
	v_fma_f64 v[2:3], v[6:7], v[21:22], v[4:5]
	v_fma_f64 v[8:9], v[23:24], v[21:22], v[0:1]
	v_fma_f64 v[4:5], -v[6:7], v[21:22], v[4:5]
	v_fma_f64 v[21:22], v[23:24], v[21:22], -v[0:1]
	s_delay_alu instid0(VALU_DEP_4) | instskip(NEXT) | instid1(VALU_DEP_4)
	v_fma_f64 v[0:1], -v[23:24], v[19:20], v[2:3]
	v_fma_f64 v[2:3], v[6:7], v[19:20], v[8:9]
	s_delay_alu instid0(VALU_DEP_4) | instskip(NEXT) | instid1(VALU_DEP_4)
	v_fma_f64 v[4:5], v[23:24], v[19:20], v[4:5]
	v_fma_f64 v[6:7], v[6:7], v[19:20], v[21:22]
	ds_store_b128 v118, v[0:3] offset:9072
	ds_store_b128 v10, v[4:7] offset:15120
	ds_load_b128 v[0:3], v118 offset:10080
	ds_load_b128 v[4:7], v10 offset:14112
	s_wait_dscnt 0x0
	v_add_f64_e32 v[8:9], v[0:1], v[4:5]
	v_add_f64_e32 v[19:20], v[6:7], v[2:3]
	v_add_f64_e64 v[21:22], v[0:1], -v[4:5]
	v_add_f64_e64 v[0:1], v[2:3], -v[6:7]
	s_wait_loadcnt 0x1
	s_delay_alu instid0(VALU_DEP_2) | instskip(NEXT) | instid1(VALU_DEP_2)
	v_fma_f64 v[2:3], v[21:22], v[17:18], v[8:9]
	v_fma_f64 v[4:5], v[19:20], v[17:18], v[0:1]
	v_fma_f64 v[6:7], -v[21:22], v[17:18], v[8:9]
	v_fma_f64 v[8:9], v[19:20], v[17:18], -v[0:1]
	s_delay_alu instid0(VALU_DEP_4) | instskip(NEXT) | instid1(VALU_DEP_4)
	v_fma_f64 v[0:1], -v[19:20], v[15:16], v[2:3]
	v_fma_f64 v[2:3], v[21:22], v[15:16], v[4:5]
	s_delay_alu instid0(VALU_DEP_4) | instskip(NEXT) | instid1(VALU_DEP_4)
	v_fma_f64 v[4:5], v[19:20], v[15:16], v[6:7]
	v_fma_f64 v[6:7], v[21:22], v[15:16], v[8:9]
	ds_store_b128 v118, v[0:3] offset:10080
	ds_store_b128 v10, v[4:7] offset:14112
	ds_load_b128 v[0:3], v118 offset:11088
	ds_load_b128 v[4:7], v10 offset:13104
	s_wait_dscnt 0x0
	v_add_f64_e32 v[8:9], v[0:1], v[4:5]
	v_add_f64_e32 v[15:16], v[6:7], v[2:3]
	v_add_f64_e64 v[17:18], v[0:1], -v[4:5]
	v_add_f64_e64 v[0:1], v[2:3], -v[6:7]
	s_wait_loadcnt 0x0
	s_delay_alu instid0(VALU_DEP_2) | instskip(NEXT) | instid1(VALU_DEP_2)
	v_fma_f64 v[2:3], v[17:18], v[13:14], v[8:9]
	v_fma_f64 v[4:5], v[15:16], v[13:14], v[0:1]
	v_fma_f64 v[6:7], -v[17:18], v[13:14], v[8:9]
	v_fma_f64 v[8:9], v[15:16], v[13:14], -v[0:1]
	s_delay_alu instid0(VALU_DEP_4) | instskip(NEXT) | instid1(VALU_DEP_4)
	v_fma_f64 v[0:1], -v[15:16], v[11:12], v[2:3]
	v_fma_f64 v[2:3], v[17:18], v[11:12], v[4:5]
	s_delay_alu instid0(VALU_DEP_4) | instskip(NEXT) | instid1(VALU_DEP_4)
	v_fma_f64 v[4:5], v[15:16], v[11:12], v[6:7]
	v_fma_f64 v[6:7], v[17:18], v[11:12], v[8:9]
	ds_store_b128 v118, v[0:3] offset:11088
	ds_store_b128 v10, v[4:7] offset:13104
	global_wb scope:SCOPE_SE
	s_wait_dscnt 0x0
	s_barrier_signal -1
	s_barrier_wait -1
	global_inv scope:SCOPE_SE
	global_wb scope:SCOPE_SE
	s_barrier_signal -1
	s_barrier_wait -1
	global_inv scope:SCOPE_SE
	ds_load_b128 v[57:60], v118
	ds_load_b128 v[61:64], v118 offset:1008
	ds_load_b128 v[0:3], v118 offset:12096
	;; [unrolled: 1-line block ×23, first 2 shown]
	s_wait_dscnt 0x15
	v_add_f64_e64 v[44:45], v[57:58], -v[0:1]
	v_add_f64_e64 v[46:47], v[59:60], -v[2:3]
	s_wait_dscnt 0x14
	v_add_f64_e64 v[40:41], v[61:62], -v[4:5]
	v_add_f64_e64 v[42:43], v[63:64], -v[6:7]
	s_wait_dscnt 0x11
	v_add_f64_e64 v[36:37], v[65:66], -v[8:9]
	v_add_f64_e64 v[38:39], v[67:68], -v[10:11]
	s_wait_dscnt 0x10
	v_add_f64_e64 v[32:33], v[76:77], -v[12:13]
	v_add_f64_e64 v[34:35], v[78:79], -v[14:15]
	s_wait_dscnt 0xd
	v_add_f64_e64 v[28:29], v[80:81], -v[16:17]
	v_add_f64_e64 v[30:31], v[82:83], -v[18:19]
	s_wait_dscnt 0xc
	v_add_f64_e64 v[24:25], v[84:85], -v[20:21]
	v_add_f64_e64 v[26:27], v[86:87], -v[22:23]
	s_wait_dscnt 0x9
	v_add_f64_e64 v[20:21], v[88:89], -v[49:50]
	v_add_f64_e64 v[22:23], v[90:91], -v[51:52]
	s_wait_dscnt 0x8
	v_add_f64_e64 v[16:17], v[92:93], -v[53:54]
	v_add_f64_e64 v[18:19], v[94:95], -v[55:56]
	s_wait_dscnt 0x5
	v_add_f64_e64 v[12:13], v[96:97], -v[104:105]
	v_add_f64_e64 v[14:15], v[98:99], -v[106:107]
	s_wait_dscnt 0x4
	v_add_f64_e64 v[8:9], v[100:101], -v[108:109]
	v_add_f64_e64 v[10:11], v[102:103], -v[110:111]
	s_wait_dscnt 0x1
	v_add_f64_e64 v[4:5], v[119:120], -v[127:128]
	v_add_f64_e64 v[6:7], v[121:122], -v[129:130]
	s_wait_dscnt 0x0
	v_add_f64_e64 v[0:1], v[123:124], -v[131:132]
	v_add_f64_e64 v[2:3], v[125:126], -v[133:134]
	v_add_nc_u32_e32 v52, 0x2b5, v112
	v_and_b32_e32 v56, 1, v112
	v_add_nc_u32_e32 v55, 0x1f8, v112
	v_add_nc_u32_e32 v54, 0x237, v112
	;; [unrolled: 1-line block ×3, first 2 shown]
	v_lshl_add_u32 v49, v75, 5, 0
	v_lshlrev_b32_e32 v130, 4, v56
	v_lshl_add_u32 v50, v71, 5, 0
	v_lshl_add_u32 v51, v113, 5, 0
	;; [unrolled: 1-line block ×5, first 2 shown]
	global_wb scope:SCOPE_SE
	s_barrier_signal -1
	v_fma_f64 v[104:105], v[57:58], 2.0, -v[44:45]
	v_fma_f64 v[106:107], v[59:60], 2.0, -v[46:47]
	;; [unrolled: 1-line block ×24, first 2 shown]
	v_and_b32_e32 v59, 1, v113
	v_and_b32_e32 v57, 1, v52
	v_lshl_add_u32 v123, v55, 5, 0
	v_lshl_add_u32 v124, v54, 5, 0
	;; [unrolled: 1-line block ×3, first 2 shown]
	v_lshlrev_b32_e32 v131, 4, v59
	v_lshlrev_b32_e32 v132, 4, v57
	v_and_b32_e32 v58, 1, v72
	v_lshl_add_u32 v126, v52, 5, 0
	s_barrier_wait -1
	global_inv scope:SCOPE_SE
	ds_store_b128 v48, v[104:107]
	ds_store_b128 v48, v[44:47] offset:16
	ds_store_b128 v49, v[61:64]
	ds_store_b128 v49, v[40:43] offset:16
	;; [unrolled: 2-line block ×12, first 2 shown]
	global_wb scope:SCOPE_SE
	s_wait_dscnt 0x0
	s_barrier_signal -1
	s_barrier_wait -1
	global_inv scope:SCOPE_SE
	s_clause 0x2
	global_load_b128 v[12:15], v131, s[8:9]
	global_load_b128 v[4:7], v130, s[8:9]
	;; [unrolled: 1-line block ×3, first 2 shown]
	v_lshlrev_b32_e32 v8, 4, v58
	v_and_b32_e32 v60, 1, v73
	v_and_b32_e32 v61, 1, v54
	v_and_b32_e32 v64, 1, v75
	v_lshlrev_b32_e32 v77, 1, v53
	global_load_b128 v[20:23], v8, s[8:9]
	v_lshlrev_b32_e32 v9, 4, v60
	v_lshlrev_b32_e32 v8, 4, v61
	s_clause 0x2
	global_load_b128 v[16:19], v9, s[8:9]
	global_load_b128 v[8:11], v8, s[8:9]
	global_load_b64 v[50:51], v132, s[8:9] offset:8
	v_lshlrev_b32_e32 v24, 4, v64
	v_lshlrev_b32_e32 v78, 1, v52
	;; [unrolled: 1-line block ×5, first 2 shown]
	global_load_b64 v[48:49], v24, s[8:9]
	ds_load_b128 v[24:27], v118 offset:15120
	ds_load_b128 v[28:31], v118 offset:12096
	ds_load_b128 v[36:39], v118 offset:13104
	ds_load_b128 v[32:35], v118 offset:14112
	ds_load_b128 v[40:43], v118 offset:17136
	ds_load_b128 v[44:47], v118 offset:16128
	ds_load_b128 v[84:87], v118 offset:19152
	ds_load_b128 v[88:91], v118 offset:18144
	ds_load_b128 v[92:95], v118 offset:21168
	ds_load_b128 v[96:99], v118 offset:20160
	ds_load_b128 v[100:103], v118 offset:22176
	ds_load_b128 v[104:107], v118 offset:23184
	ds_load_b128 v[108:111], v118
	ds_load_b128 v[119:122], v118 offset:1008
	v_lshlrev_b32_e32 v65, 1, v70
	v_lshlrev_b32_e32 v79, 1, v72
	;; [unrolled: 1-line block ×4, first 2 shown]
	v_and_or_b32 v69, 0x7c, v68, v56
	v_lshlrev_b32_e32 v63, 1, v75
	v_lshlrev_b32_e32 v81, 1, v73
	;; [unrolled: 1-line block ×3, first 2 shown]
	v_and_b32_e32 v82, 3, v72
	v_and_b32_e32 v62, 3, v112
	;; [unrolled: 1-line block ×3, first 2 shown]
	v_and_or_b32 v64, 0xfc, v63, v64
	v_lshl_add_u32 v69, v69, 4, 0
	v_and_or_b32 v60, 0x3fc, v81, v60
	v_and_or_b32 v61, 0x4fc, v76, v61
	v_lshlrev_b32_e32 v167, 4, v62
	v_and_b32_e32 v83, 3, v74
	s_delay_alu instid0(VALU_DEP_4) | instskip(NEXT) | instid1(VALU_DEP_4)
	v_lshl_add_u32 v60, v60, 4, 0
	v_lshl_add_u32 v61, v61, 4, 0
	s_wait_loadcnt_dscnt 0x70d
	v_mul_f64_e32 v[123:124], v[26:27], v[14:15]
	s_wait_loadcnt_dscnt 0x60c
	v_mul_f64_e32 v[125:126], v[30:31], v[6:7]
	v_mul_f64_e32 v[127:128], v[28:29], v[6:7]
	s_wait_loadcnt_dscnt 0x50b
	v_mul_f64_e32 v[129:130], v[38:39], v[2:3]
	v_mul_f64_e32 v[2:3], v[36:37], v[2:3]
	s_wait_dscnt 0xa
	v_mul_f64_e32 v[131:132], v[34:35], v[6:7]
	v_mul_f64_e32 v[133:134], v[32:33], v[6:7]
	;; [unrolled: 1-line block ×3, first 2 shown]
	s_wait_dscnt 0x8
	v_mul_f64_e32 v[137:138], v[46:47], v[6:7]
	v_mul_f64_e32 v[139:140], v[44:45], v[6:7]
	s_wait_loadcnt 0x4
	v_mul_f64_e32 v[135:136], v[42:43], v[22:23]
	v_mul_f64_e32 v[22:23], v[40:41], v[22:23]
	s_wait_dscnt 0x6
	v_mul_f64_e32 v[143:144], v[90:91], v[6:7]
	v_mul_f64_e32 v[145:146], v[88:89], v[6:7]
	s_wait_loadcnt 0x3
	v_mul_f64_e32 v[141:142], v[86:87], v[18:19]
	v_mul_f64_e32 v[18:19], v[84:85], v[18:19]
	s_wait_dscnt 0x4
	v_mul_f64_e32 v[149:150], v[98:99], v[6:7]
	v_mul_f64_e32 v[151:152], v[96:97], v[6:7]
	s_wait_loadcnt 0x2
	v_mul_f64_e32 v[147:148], v[94:95], v[10:11]
	v_mul_f64_e32 v[10:11], v[92:93], v[10:11]
	s_wait_dscnt 0x3
	v_mul_f64_e32 v[153:154], v[102:103], v[6:7]
	v_mul_f64_e32 v[6:7], v[100:101], v[6:7]
	s_wait_loadcnt_dscnt 0x102
	v_mul_f64_e32 v[155:156], v[106:107], v[50:51]
	v_mul_f64_e32 v[50:51], v[104:105], v[50:51]
	v_fma_f64 v[123:124], v[24:25], v[12:13], v[123:124]
	v_fma_f64 v[125:126], v[28:29], v[4:5], v[125:126]
	v_fma_f64 v[127:128], v[30:31], v[4:5], -v[127:128]
	s_wait_loadcnt 0x0
	v_fma_f64 v[129:130], v[36:37], v[48:49], v[129:130]
	v_fma_f64 v[48:49], v[38:39], v[48:49], -v[2:3]
	v_fma_f64 v[131:132], v[32:33], v[4:5], v[131:132]
	v_fma_f64 v[133:134], v[34:35], v[4:5], -v[133:134]
	v_fma_f64 v[157:158], v[26:27], v[12:13], -v[14:15]
	v_fma_f64 v[137:138], v[44:45], v[4:5], v[137:138]
	v_fma_f64 v[139:140], v[46:47], v[4:5], -v[139:140]
	v_fma_f64 v[135:136], v[40:41], v[20:21], v[135:136]
	;; [unrolled: 2-line block ×8, first 2 shown]
	ds_load_b128 v[2:5], v118 offset:2016
	ds_load_b128 v[6:9], v118 offset:3024
	v_fma_f64 v[0:1], v[106:107], v[0:1], -v[50:51]
	ds_load_b128 v[10:13], v118 offset:4032
	ds_load_b128 v[14:17], v118 offset:5040
	ds_load_b128 v[18:21], v118 offset:6048
	ds_load_b128 v[22:25], v118 offset:7056
	ds_load_b128 v[26:29], v118 offset:8064
	ds_load_b128 v[30:33], v118 offset:9072
	ds_load_b128 v[34:37], v118 offset:10080
	ds_load_b128 v[38:41], v118 offset:11088
	v_and_b32_e32 v84, 3, v53
	v_and_b32_e32 v85, 3, v52
	global_wb scope:SCOPE_SE
	s_wait_dscnt 0x0
	s_barrier_signal -1
	s_barrier_wait -1
	global_inv scope:SCOPE_SE
	v_add_f64_e64 v[42:43], v[108:109], -v[125:126]
	v_add_f64_e64 v[44:45], v[110:111], -v[127:128]
	;; [unrolled: 1-line block ×23, first 2 shown]
	v_and_or_b32 v139, 0x1fc, v66, v56
	v_add_f64_e64 v[137:138], v[40:41], -v[0:1]
	v_and_or_b32 v140, 0x1fc, v67, v59
	v_and_or_b32 v141, 0x3fc, v65, v56
	;; [unrolled: 1-line block ×7, first 2 shown]
	v_lshlrev_b32_e32 v147, 4, v82
	v_lshlrev_b32_e32 v148, 4, v54
	;; [unrolled: 1-line block ×3, first 2 shown]
	v_fma_f64 v[56:57], v[108:109], 2.0, -v[42:43]
	v_fma_f64 v[58:59], v[110:111], 2.0, -v[44:45]
	v_fma_f64 v[106:107], v[119:120], 2.0, -v[46:47]
	v_fma_f64 v[108:109], v[121:122], 2.0, -v[48:49]
	v_fma_f64 v[0:1], v[2:3], 2.0, -v[50:51]
	v_fma_f64 v[2:3], v[4:5], 2.0, -v[52:53]
	v_fma_f64 v[4:5], v[6:7], 2.0, -v[86:87]
	v_fma_f64 v[6:7], v[8:9], 2.0, -v[88:89]
	v_fma_f64 v[8:9], v[10:11], 2.0, -v[90:91]
	v_fma_f64 v[10:11], v[12:13], 2.0, -v[92:93]
	v_fma_f64 v[12:13], v[14:15], 2.0, -v[94:95]
	v_fma_f64 v[14:15], v[16:17], 2.0, -v[96:97]
	v_fma_f64 v[16:17], v[18:19], 2.0, -v[98:99]
	v_fma_f64 v[18:19], v[20:21], 2.0, -v[100:101]
	v_fma_f64 v[20:21], v[22:23], 2.0, -v[102:103]
	v_fma_f64 v[22:23], v[24:25], 2.0, -v[104:105]
	v_fma_f64 v[24:25], v[26:27], 2.0, -v[123:124]
	v_fma_f64 v[26:27], v[28:29], 2.0, -v[125:126]
	v_fma_f64 v[28:29], v[30:31], 2.0, -v[127:128]
	v_fma_f64 v[30:31], v[32:33], 2.0, -v[129:130]
	v_fma_f64 v[32:33], v[34:35], 2.0, -v[131:132]
	v_fma_f64 v[34:35], v[36:37], 2.0, -v[133:134]
	v_fma_f64 v[36:37], v[38:39], 2.0, -v[135:136]
	v_lshl_add_u32 v110, v141, 4, 0
	v_fma_f64 v[38:39], v[40:41], 2.0, -v[137:138]
	v_lshl_add_u32 v40, v64, 4, 0
	v_lshl_add_u32 v41, v139, 4, 0
	;; [unrolled: 1-line block ×8, first 2 shown]
	ds_store_b128 v69, v[56:59]
	ds_store_b128 v69, v[42:45] offset:32
	ds_store_b128 v40, v[106:109]
	ds_store_b128 v40, v[46:49] offset:32
	;; [unrolled: 2-line block ×12, first 2 shown]
	global_wb scope:SCOPE_SE
	s_wait_dscnt 0x0
	s_barrier_signal -1
	s_barrier_wait -1
	global_inv scope:SCOPE_SE
	s_clause 0x1
	global_load_b128 v[10:13], v147, s[8:9] offset:32
	global_load_b128 v[22:25], v167, s[8:9] offset:32
	v_lshlrev_b32_e32 v4, 4, v85
	s_clause 0x1
	global_load_b128 v[26:29], v148, s[8:9] offset:32
	global_load_b128 v[30:33], v149, s[8:9] offset:32
	v_and_b32_e32 v56, 3, v73
	v_lshlrev_b32_e32 v0, 4, v83
	global_load_b128 v[86:89], v4, s[8:9] offset:32
	v_and_b32_e32 v57, 3, v75
	v_and_b32_e32 v58, 3, v71
	v_lshlrev_b32_e32 v1, 4, v56
	s_clause 0x4
	global_load_b128 v[14:17], v0, s[8:9] offset:32
	global_load_b128 v[18:21], v1, s[8:9] offset:32
	global_load_b64 v[0:1], v148, s[8:9] offset:40
	global_load_b64 v[2:3], v149, s[8:9] offset:40
	;; [unrolled: 1-line block ×3, first 2 shown]
	v_and_b32_e32 v59, 3, v113
	v_lshlrev_b32_e32 v6, 4, v57
	v_lshlrev_b32_e32 v7, 4, v58
	v_and_or_b32 v64, 0x78, v68, v62
	v_and_or_b32 v66, 0x1f8, v66, v58
	v_lshlrev_b32_e32 v8, 4, v59
	s_clause 0x2
	global_load_b64 v[60:61], v6, s[8:9] offset:32
	global_load_b64 v[110:111], v7, s[8:9] offset:32
	;; [unrolled: 1-line block ×3, first 2 shown]
	ds_load_b128 v[90:93], v118 offset:17136
	ds_load_b128 v[34:37], v118 offset:12096
	ds_load_b128 v[38:41], v118 offset:13104
	ds_load_b128 v[42:45], v118 offset:14112
	ds_load_b128 v[46:49], v118 offset:15120
	ds_load_b128 v[50:53], v118 offset:16128
	ds_load_b128 v[94:97], v118 offset:18144
	ds_load_b128 v[98:101], v118 offset:19152
	ds_load_b128 v[102:105], v118 offset:20160
	ds_load_b128 v[106:109], v118 offset:21168
	ds_load_b128 v[119:122], v118 offset:22176
	ds_load_b128 v[123:126], v118 offset:23184
	v_and_or_b32 v67, 0x1f8, v67, v59
	v_and_b32_e32 v69, 7, v112
	v_lshl_add_u32 v66, v66, 4, 0
	s_delay_alu instid0(VALU_DEP_3)
	v_lshl_add_u32 v67, v67, 4, 0
	s_wait_loadcnt_dscnt 0xc0b
	v_mul_f64_e32 v[8:9], v[92:93], v[12:13]
	s_wait_loadcnt_dscnt 0xb0a
	v_mul_f64_e32 v[129:130], v[36:37], v[24:25]
	v_mul_f64_e32 v[131:132], v[34:35], v[24:25]
	s_wait_loadcnt_dscnt 0xa09
	v_mul_f64_e32 v[133:134], v[40:41], v[28:29]
	;; [unrolled: 3-line block ×4, first 2 shown]
	v_mul_f64_e32 v[88:89], v[46:47], v[88:89]
	s_wait_dscnt 0x6
	v_mul_f64_e32 v[139:140], v[52:53], v[24:25]
	v_mul_f64_e32 v[141:142], v[50:51], v[24:25]
	;; [unrolled: 1-line block ×3, first 2 shown]
	s_wait_loadcnt_dscnt 0x705
	v_mul_f64_e32 v[143:144], v[96:97], v[16:17]
	v_mul_f64_e32 v[16:17], v[94:95], v[16:17]
	s_wait_loadcnt_dscnt 0x604
	v_mul_f64_e32 v[145:146], v[100:101], v[20:21]
	v_mul_f64_e32 v[20:21], v[98:99], v[20:21]
	s_wait_dscnt 0x3
	v_mul_f64_e32 v[147:148], v[104:105], v[24:25]
	v_mul_f64_e32 v[24:25], v[102:103], v[24:25]
	s_wait_loadcnt_dscnt 0x502
	v_mul_f64_e32 v[149:150], v[108:109], v[0:1]
	v_mul_f64_e32 v[151:152], v[106:107], v[0:1]
	s_wait_loadcnt_dscnt 0x401
	;; [unrolled: 3-line block ×3, first 2 shown]
	v_mul_f64_e32 v[157:158], v[125:126], v[4:5]
	v_mul_f64_e32 v[159:160], v[123:124], v[4:5]
	ds_load_b128 v[0:3], v118
	ds_load_b128 v[4:7], v118 offset:1008
	v_fma_f64 v[8:9], v[90:91], v[10:11], v[8:9]
	v_fma_f64 v[34:35], v[34:35], v[22:23], v[129:130]
	v_fma_f64 v[36:37], v[36:37], v[22:23], -v[131:132]
	s_wait_loadcnt 0x2
	v_fma_f64 v[38:39], v[38:39], v[60:61], v[133:134]
	v_fma_f64 v[40:41], v[40:41], v[60:61], -v[28:29]
	s_wait_loadcnt 0x1
	;; [unrolled: 3-line block ×3, first 2 shown]
	v_fma_f64 v[46:47], v[46:47], v[127:128], v[137:138]
	v_fma_f64 v[48:49], v[48:49], v[127:128], -v[88:89]
	v_fma_f64 v[50:51], v[50:51], v[22:23], v[139:140]
	v_fma_f64 v[52:53], v[52:53], v[22:23], -v[141:142]
	v_fma_f64 v[10:11], v[92:93], v[10:11], -v[12:13]
	v_fma_f64 v[12:13], v[94:95], v[14:15], v[143:144]
	v_fma_f64 v[14:15], v[96:97], v[14:15], -v[16:17]
	v_fma_f64 v[16:17], v[98:99], v[18:19], v[145:146]
	;; [unrolled: 2-line block ×6, first 2 shown]
	ds_load_b128 v[88:91], v118 offset:2016
	v_fma_f64 v[60:61], v[125:126], v[86:87], -v[159:160]
	ds_load_b128 v[92:95], v118 offset:3024
	ds_load_b128 v[96:99], v118 offset:4032
	;; [unrolled: 1-line block ×9, first 2 shown]
	v_and_or_b32 v139, 0xf8, v63, v57
	v_and_or_b32 v142, 0x3f8, v81, v56
	;; [unrolled: 1-line block ×9, first 2 shown]
	global_wb scope:SCOPE_SE
	s_wait_dscnt 0x0
	s_barrier_signal -1
	v_add_f64_e64 v[34:35], v[0:1], -v[34:35]
	v_add_f64_e64 v[36:37], v[2:3], -v[36:37]
	;; [unrolled: 1-line block ×24, first 2 shown]
	v_lshl_add_u32 v33, v64, 4, 0
	v_lshlrev_b32_e32 v32, 5, v69
	s_barrier_wait -1
	global_inv scope:SCOPE_SE
	v_fma_f64 v[0:1], v[0:1], 2.0, -v[34:35]
	v_fma_f64 v[2:3], v[2:3], 2.0, -v[36:37]
	;; [unrolled: 1-line block ×24, first 2 shown]
	v_lshl_add_u32 v104, v139, 4, 0
	v_lshl_add_u32 v105, v143, 4, 0
	;; [unrolled: 1-line block ×9, first 2 shown]
	ds_store_b128 v33, v[0:3]
	ds_store_b128 v33, v[34:37] offset:64
	ds_store_b128 v104, v[4:7]
	ds_store_b128 v104, v[38:41] offset:64
	;; [unrolled: 2-line block ×12, first 2 shown]
	v_and_b32_e32 v77, 7, v75
	global_wb scope:SCOPE_SE
	s_wait_dscnt 0x0
	s_barrier_signal -1
	s_barrier_wait -1
	global_inv scope:SCOPE_SE
	s_clause 0x1
	global_load_b128 v[0:3], v32, s[8:9] offset:96
	global_load_b128 v[8:11], v32, s[8:9] offset:112
	v_lshlrev_b32_e32 v4, 5, v77
	s_clause 0x1
	global_load_b128 v[12:15], v4, s[8:9] offset:96
	global_load_b128 v[4:7], v4, s[8:9] offset:112
	v_and_b32_e32 v78, 7, v71
	v_and_b32_e32 v81, 7, v113
	;; [unrolled: 1-line block ×5, first 2 shown]
	v_lshlrev_b32_e32 v16, 5, v78
	v_lshlrev_b32_e32 v24, 5, v81
	;; [unrolled: 1-line block ×3, first 2 shown]
	s_clause 0x5
	global_load_b128 v[20:23], v16, s[8:9] offset:96
	global_load_b128 v[16:19], v16, s[8:9] offset:112
	global_load_b128 v[28:31], v24, s[8:9] offset:96
	global_load_b128 v[36:39], v32, s[8:9] offset:96
	global_load_b128 v[24:27], v24, s[8:9] offset:112
	global_load_b128 v[32:35], v32, s[8:9] offset:112
	v_lshlrev_b32_e32 v40, 5, v82
	v_and_b32_e32 v84, 7, v73
	v_lshlrev_b32_e32 v52, 5, v83
	v_lshrrev_b32_e32 v93, 3, v75
	v_lshrrev_b32_e32 v76, 3, v112
	s_clause 0x2
	global_load_b128 v[48:51], v40, s[8:9] offset:96
	global_load_b128 v[44:47], v40, s[8:9] offset:112
	;; [unrolled: 1-line block ×3, first 2 shown]
	v_lshlrev_b32_e32 v60, 5, v84
	s_clause 0x2
	global_load_b128 v[52:55], v52, s[8:9] offset:112
	global_load_b128 v[56:59], v60, s[8:9] offset:96
	;; [unrolled: 1-line block ×3, first 2 shown]
	ds_load_b128 v[64:67], v118 offset:8064
	ds_load_b128 v[89:92], v118 offset:9072
	;; [unrolled: 1-line block ×3, first 2 shown]
	v_mul_u32_u24_e32 v123, 24, v93
	ds_load_b128 v[93:96], v118 offset:17136
	v_and_b32_e32 v80, 0xff, v112
	v_mul_u32_u24_e32 v76, 24, v76
	v_lshrrev_b32_e32 v97, 3, v71
	v_lshrrev_b32_e32 v98, 3, v113
	;; [unrolled: 1-line block ×6, first 2 shown]
	v_mul_lo_u16 v103, 0xab, v80
	v_or_b32_e32 v69, v76, v69
	v_mul_u32_u24_e32 v127, 24, v97
	v_mul_u32_u24_e32 v131, 24, v98
	;; [unrolled: 1-line block ×6, first 2 shown]
	v_lshrrev_b16 v76, 12, v103
	ds_load_b128 v[97:100], v118 offset:10080
	ds_load_b128 v[101:104], v118 offset:18144
	;; [unrolled: 1-line block ×4, first 2 shown]
	v_or_b32_e32 v181, v123, v77
	ds_load_b128 v[123:126], v118 offset:12096
	v_or_b32_e32 v187, v127, v78
	ds_load_b128 v[127:130], v118 offset:20160
	;; [unrolled: 2-line block ×3, first 2 shown]
	ds_load_b128 v[135:138], v118 offset:21168
	ds_load_b128 v[139:142], v118 offset:14112
	;; [unrolled: 1-line block ×5, first 2 shown]
	v_or_b32_e32 v190, v177, v79
	v_or_b32_e32 v191, v178, v82
	;; [unrolled: 1-line block ×4, first 2 shown]
	v_and_b32_e32 v111, 0xff, v75
	v_and_b32_e32 v80, 0xff, v71
	v_lshl_add_u32 v69, v69, 4, 0
	s_delay_alu instid0(VALU_DEP_3) | instskip(NEXT) | instid1(VALU_DEP_3)
	v_mul_lo_u16 v111, 0xab, v111
	v_mul_lo_u16 v189, 0xab, v80
	;; [unrolled: 1-line block ×3, first 2 shown]
	s_delay_alu instid0(VALU_DEP_3)
	v_lshrrev_b16 v77, 12, v111
	v_lshl_add_u32 v111, v181, 4, 0
	s_wait_loadcnt_dscnt 0xf0f
	v_mul_f64_e32 v[109:110], v[66:67], v[2:3]
	s_wait_loadcnt_dscnt 0xe0d
	v_mul_f64_e32 v[155:156], v[87:88], v[10:11]
	v_mul_f64_e32 v[2:3], v[64:65], v[2:3]
	;; [unrolled: 1-line block ×3, first 2 shown]
	s_wait_loadcnt 0xd
	v_mul_f64_e32 v[157:158], v[91:92], v[14:15]
	s_wait_loadcnt_dscnt 0xc0c
	v_mul_f64_e32 v[159:160], v[95:96], v[6:7]
	v_mul_f64_e32 v[14:15], v[89:90], v[14:15]
	;; [unrolled: 1-line block ×3, first 2 shown]
	s_wait_loadcnt_dscnt 0xb0b
	v_mul_f64_e32 v[161:162], v[99:100], v[22:23]
	v_mul_f64_e32 v[22:23], v[97:98], v[22:23]
	s_wait_loadcnt_dscnt 0xa0a
	v_mul_f64_e32 v[163:164], v[103:104], v[18:19]
	v_mul_f64_e32 v[18:19], v[101:102], v[18:19]
	;; [unrolled: 3-line block ×8, first 2 shown]
	v_fma_f64 v[64:65], v[64:65], v[0:1], v[109:110]
	v_mul_f64_e32 v[109:110], v[125:126], v[38:39]
	v_mul_f64_e32 v[38:39], v[123:124], v[38:39]
	v_fma_f64 v[85:86], v[85:86], v[8:9], v[155:156]
	v_mul_f64_e32 v[155:156], v[133:134], v[50:51]
	v_mul_f64_e32 v[50:51], v[131:132], v[50:51]
	v_fma_f64 v[89:90], v[89:90], v[12:13], v[157:158]
	v_mul_f64_e32 v[157:158], v[141:142], v[42:43]
	v_mul_f64_e32 v[42:43], v[139:140], v[42:43]
	v_fma_f64 v[93:94], v[93:94], v[4:5], v[159:160]
	v_mul_f64_e32 v[159:160], v[145:146], v[58:59]
	v_mul_f64_e32 v[58:59], v[143:144], v[58:59]
	v_fma_f64 v[66:67], v[66:67], v[0:1], -v[2:3]
	v_fma_f64 v[87:88], v[87:88], v[8:9], -v[10:11]
	;; [unrolled: 1-line block ×4, first 2 shown]
	v_mul_lo_u16 v0, v76, 24
	v_fma_f64 v[78:79], v[97:98], v[20:21], v[161:162]
	v_fma_f64 v[81:82], v[99:100], v[20:21], -v[22:23]
	v_fma_f64 v[83:84], v[101:102], v[16:17], v[163:164]
	v_fma_f64 v[97:98], v[103:104], v[16:17], -v[18:19]
	;; [unrolled: 2-line block ×4, first 2 shown]
	v_sub_nc_u16 v194, v112, v0
	ds_load_b128 v[0:3], v118
	ds_load_b128 v[4:7], v118 offset:1008
	ds_load_b128 v[8:11], v118 offset:2016
	;; [unrolled: 1-line block ×7, first 2 shown]
	global_wb scope:SCOPE_SE
	s_wait_dscnt 0x0
	s_barrier_signal -1
	s_barrier_wait -1
	global_inv scope:SCOPE_SE
	v_fma_f64 v[107:108], v[123:124], v[36:37], v[109:110]
	v_fma_f64 v[36:37], v[125:126], v[36:37], -v[38:39]
	v_fma_f64 v[38:39], v[127:128], v[32:33], v[169:170]
	v_fma_f64 v[32:33], v[129:130], v[32:33], -v[34:35]
	;; [unrolled: 2-line block ×8, first 2 shown]
	v_add_f64_e32 v[62:63], v[64:65], v[85:86]
	v_add_f64_e32 v[109:110], v[66:67], v[87:88]
	;; [unrolled: 1-line block ×15, first 2 shown]
	v_add_f64_e64 v[66:67], v[66:67], -v[87:88]
	v_add_f64_e64 v[64:65], v[64:65], -v[85:86]
	;; [unrolled: 1-line block ×4, first 2 shown]
	v_add_f64_e32 v[137:138], v[8:9], v[78:79]
	v_add_f64_e64 v[81:82], v[81:82], -v[97:98]
	v_add_f64_e64 v[78:79], v[78:79], -v[83:84]
	v_add_f64_e32 v[161:162], v[16:17], v[107:108]
	v_add_f64_e32 v[157:158], v[18:19], v[36:37]
	;; [unrolled: 1-line block ×4, first 2 shown]
	v_add_f64_e64 v[165:166], v[36:37], -v[32:33]
	v_add_f64_e32 v[167:168], v[22:23], v[48:49]
	v_add_f64_e32 v[151:152], v[34:35], v[50:51]
	;; [unrolled: 1-line block ×3, first 2 shown]
	v_add_f64_e64 v[179:180], v[48:49], -v[44:45]
	v_add_f64_e32 v[173:174], v[24:25], v[46:47]
	v_add_f64_e32 v[155:156], v[46:47], v[42:43]
	;; [unrolled: 1-line block ×7, first 2 shown]
	v_fma_f64 v[62:63], v[62:63], -0.5, v[0:1]
	v_fma_f64 v[48:49], v[109:110], -0.5, v[2:3]
	;; [unrolled: 1-line block ×5, first 2 shown]
	v_add_f64_e64 v[185:186], v[56:57], -v[60:61]
	v_fma_f64 v[56:57], v[133:134], -0.5, v[10:11]
	v_add_f64_e32 v[171:172], v[26:27], v[40:41]
	v_add_f64_e64 v[101:102], v[101:102], -v[105:106]
	v_add_f64_e64 v[99:100], v[99:100], -v[103:104]
	v_add_f64_e32 v[177:178], v[28:29], v[54:55]
	v_fma_f64 v[139:140], v[139:140], -0.5, v[12:13]
	v_add_f64_e32 v[2:3], v[119:120], v[87:88]
	v_fma_f64 v[87:88], v[141:142], -0.5, v[14:15]
	v_add_f64_e64 v[107:108], v[107:108], -v[38:39]
	v_add_f64_e32 v[0:1], v[121:122], v[85:86]
	v_add_f64_e32 v[6:7], v[127:128], v[95:96]
	v_add_f64_e64 v[109:110], v[34:35], -v[50:51]
	v_add_f64_e32 v[4:5], v[129:130], v[93:94]
	v_add_f64_e32 v[10:11], v[135:136], v[97:98]
	v_add_f64_e64 v[181:182], v[40:41], -v[52:53]
	v_add_f64_e64 v[183:184], v[46:47], -v[42:43]
	v_add_f64_e32 v[14:15], v[145:146], v[105:106]
	v_add_f64_e64 v[133:134], v[54:55], -v[58:59]
	v_fma_f64 v[85:86], v[143:144], -0.5, v[16:17]
	v_fma_f64 v[95:96], v[147:148], -0.5, v[18:19]
	v_add_f64_e32 v[12:13], v[149:150], v[103:104]
	v_add_f64_e32 v[18:19], v[157:158], v[32:33]
	v_fma_f64 v[93:94], v[151:152], -0.5, v[20:21]
	v_fma_f64 v[97:98], v[153:154], -0.5, v[22:23]
	v_add_f64_e32 v[16:17], v[161:162], v[38:39]
	v_add_f64_e32 v[22:23], v[167:168], v[44:45]
	;; [unrolled: 4-line block ×3, first 2 shown]
	v_fma_f64 v[103:104], v[163:164], -0.5, v[28:29]
	v_fma_f64 v[121:122], v[36:37], -0.5, v[30:31]
	v_fma_f64 v[32:33], v[66:67], s[4:5], v[62:63]
	s_wait_alu 0xfffe
	v_fma_f64 v[34:35], v[64:65], s[10:11], v[48:49]
	v_fma_f64 v[36:37], v[66:67], s[10:11], v[62:63]
	;; [unrolled: 1-line block ×7, first 2 shown]
	v_add_f64_e32 v[20:21], v[169:170], v[50:51]
	v_fma_f64 v[48:49], v[81:82], s[4:5], v[131:132]
	v_fma_f64 v[50:51], v[78:79], s[10:11], v[56:57]
	v_add_f64_e32 v[26:27], v[171:172], v[52:53]
	v_fma_f64 v[52:53], v[81:82], s[10:11], v[131:132]
	v_fma_f64 v[54:55], v[78:79], s[4:5], v[56:57]
	;; [unrolled: 3-line block ×4, first 2 shown]
	v_lshl_add_u32 v79, v187, 4, 0
	v_and_b32_e32 v78, 0xff, v194
	v_and_b32_e32 v124, 0xffff, v76
	v_fma_f64 v[64:65], v[165:166], s[4:5], v[85:86]
	v_fma_f64 v[66:67], v[107:108], s[10:11], v[95:96]
	;; [unrolled: 1-line block ×16, first 2 shown]
	v_mul_lo_u16 v119, v77, 24
	v_lshl_add_u32 v109, v188, 4, 0
	v_lshl_add_u32 v110, v190, 4, 0
	;; [unrolled: 1-line block ×5, first 2 shown]
	ds_store_b128 v69, v[0:3]
	ds_store_b128 v69, v[32:35] offset:128
	ds_store_b128 v69, v[36:39] offset:256
	ds_store_b128 v111, v[4:7]
	ds_store_b128 v111, v[40:43] offset:128
	ds_store_b128 v111, v[44:47] offset:256
	;; [unrolled: 3-line block ×8, first 2 shown]
	v_lshrrev_b16 v81, 12, v189
	v_sub_nc_u16 v119, v75, v119
	v_lshlrev_b32_e32 v123, 5, v78
	v_and_b32_e32 v93, 0xff, v113
	global_wb scope:SCOPE_SE
	s_wait_dscnt 0x0
	v_mul_lo_u16 v8, v81, 24
	v_and_b32_e32 v79, 0xff, v119
	s_barrier_signal -1
	s_barrier_wait -1
	global_inv scope:SCOPE_SE
	v_sub_nc_u16 v13, v71, v8
	global_load_b128 v[0:3], v123, s[8:9] offset:352
	v_lshlrev_b32_e32 v12, 5, v79
	v_and_b32_e32 v95, 0xffff, v72
	global_load_b128 v[4:7], v123, s[8:9] offset:368
	v_and_b32_e32 v85, 0xff, v13
	v_mul_lo_u16 v14, 0xab, v93
	v_dual_mov_b32 v69, 0 :: v_dual_and_b32 v94, 0xffff, v70
	s_clause 0x1
	global_load_b128 v[8:11], v12, s[8:9] offset:352
	global_load_b128 v[52:55], v12, s[8:9] offset:368
	v_lshlrev_b32_e32 v12, 5, v85
	v_and_b32_e32 v97, 0xffff, v74
	v_mul_u32_u24_e32 v15, 0xaaab, v94
	v_lshrrev_b16 v91, 12, v14
	v_mul_u32_u24_e32 v13, 0xaaab, v95
	s_clause 0x1
	global_load_b128 v[56:59], v12, s[8:9] offset:352
	global_load_b128 v[40:43], v12, s[8:9] offset:368
	v_lshrrev_b32_e32 v92, 20, v15
	v_mul_lo_u16 v14, v91, 24
	v_mul_u32_u24_e32 v15, 0xaaab, v97
	v_lshrrev_b32_e32 v87, 20, v13
	v_and_b32_e32 v96, 0xffff, v73
	v_mul_lo_u16 v13, v92, 24
	v_sub_nc_u16 v14, v113, v14
	v_lshrrev_b32_e32 v89, 20, v15
	v_mul_lo_u16 v15, v87, 24
	v_mul_u32_u24_e32 v16, 0xaaab, v96
	v_sub_nc_u16 v13, v70, v13
	v_and_b32_e32 v86, 0xff, v14
	v_mul_lo_u16 v14, v89, 24
	v_sub_nc_u16 v15, v72, v15
	v_lshrrev_b32_e32 v90, 20, v16
	v_and_b32_e32 v88, 0xffff, v13
	v_lshlrev_b32_e32 v13, 5, v86
	v_sub_nc_u16 v17, v74, v14
	v_and_b32_e32 v82, 0xffff, v15
	v_mul_lo_u16 v16, v90, 24
	v_lshlrev_b32_e32 v18, 5, v88
	global_load_b128 v[44:47], v13, s[8:9] offset:352
	v_and_b32_e32 v83, 0xffff, v17
	v_lshlrev_b32_e32 v17, 5, v82
	v_sub_nc_u16 v16, v73, v16
	s_clause 0x1
	global_load_b128 v[28:31], v18, s[8:9] offset:352
	global_load_b128 v[24:27], v18, s[8:9] offset:368
	v_add_nc_u32_e32 v98, -9, v112
	s_clause 0x1
	global_load_b128 v[36:39], v17, s[8:9] offset:352
	global_load_b128 v[12:15], v13, s[8:9] offset:368
	v_and_b32_e32 v84, 0xffff, v16
	v_lshlrev_b32_e32 v16, 5, v83
	s_clause 0x1
	global_load_b128 v[32:35], v17, s[8:9] offset:368
	global_load_b128 v[20:23], v16, s[8:9] offset:352
	v_lshlrev_b32_e32 v60, 5, v84
	s_clause 0x2
	global_load_b128 v[16:19], v16, s[8:9] offset:368
	global_load_b128 v[48:51], v60, s[8:9] offset:352
	;; [unrolled: 1-line block ×3, first 2 shown]
	ds_load_b128 v[64:67], v118 offset:8064
	ds_load_b128 v[102:105], v118 offset:9072
	s_wait_alu 0xf1ff
	v_cndmask_b32_e64 v75, v98, v75, s0
	ds_load_b128 v[98:101], v118 offset:16128
	ds_load_b128 v[131:134], v118 offset:12096
	v_lshlrev_b64_e32 v[106:107], 4, v[68:69]
	v_mul_u32_u24_e32 v120, 0xe38f, v94
	v_mul_u32_u24_e32 v121, 0xe38f, v95
	;; [unrolled: 1-line block ×4, first 2 shown]
	ds_load_b128 v[94:97], v118 offset:17136
	v_add_co_u32 v163, s0, s8, v106
	s_wait_alu 0xf1ff
	v_add_co_ci_u32_e64 v164, s0, s9, v107, s0
	ds_load_b128 v[106:109], v118 offset:10080
	v_lshlrev_b32_e32 v68, 1, v75
	v_mul_lo_u16 v119, v93, 57
	v_lshrrev_b16 v93, 12, v80
	v_lshrrev_b32_e32 v76, 22, v120
	v_lshrrev_b32_e32 v199, 22, v123
	v_lshlrev_b64_e32 v[165:166], 4, v[68:69]
	v_lshrrev_b16 v80, 12, v119
	v_lshrrev_b32_e32 v69, 22, v121
	v_lshrrev_b32_e32 v68, 22, v122
	ds_load_b128 v[119:122], v118 offset:18144
	v_mul_u32_u24_e32 v183, 0x480, v124
	ds_load_b128 v[123:126], v118 offset:11088
	ds_load_b128 v[127:130], v118 offset:19152
	;; [unrolled: 1-line block ×9, first 2 shown]
	v_and_b32_e32 v184, 0xffff, v91
	v_mul_u32_u24_e32 v200, 0x480, v92
	v_and_b32_e32 v77, 0xffff, v77
	v_mul_u32_u24_e32 v201, 0x480, v87
	v_lshlrev_b32_e32 v207, 4, v85
	v_lshlrev_b32_e32 v208, 4, v86
	;; [unrolled: 1-line block ×3, first 2 shown]
	v_mul_u32_u24_e32 v204, 0x480, v77
	v_mul_u32_u24_e32 v202, 0x480, v89
	;; [unrolled: 1-line block ×4, first 2 shown]
	v_and_b32_e32 v81, 0xffff, v81
	v_lshlrev_b32_e32 v79, 4, v79
	s_delay_alu instid0(VALU_DEP_2) | instskip(NEXT) | instid1(VALU_DEP_2)
	v_mul_u32_u24_e32 v81, 0x480, v81
	v_add3_u32 v79, 0, v204, v79
	s_delay_alu instid0(VALU_DEP_2)
	v_add3_u32 v81, 0, v81, v207
	s_wait_loadcnt_dscnt 0xf0f
	v_mul_f64_e32 v[110:111], v[66:67], v[2:3]
	v_mul_f64_e32 v[2:3], v[64:65], v[2:3]
	s_wait_loadcnt_dscnt 0xe0d
	v_mul_f64_e32 v[167:168], v[100:101], v[6:7]
	v_mul_f64_e32 v[6:7], v[98:99], v[6:7]
	s_wait_loadcnt 0xd
	v_mul_f64_e32 v[169:170], v[104:105], v[10:11]
	s_wait_loadcnt_dscnt 0xc0b
	v_mul_f64_e32 v[171:172], v[96:97], v[54:55]
	v_mul_f64_e32 v[54:55], v[94:95], v[54:55]
	;; [unrolled: 1-line block ×3, first 2 shown]
	s_wait_loadcnt_dscnt 0xb0a
	v_mul_f64_e32 v[173:174], v[108:109], v[58:59]
	v_mul_f64_e32 v[58:59], v[106:107], v[58:59]
	s_wait_loadcnt_dscnt 0xa09
	v_mul_f64_e32 v[91:92], v[121:122], v[42:43]
	v_mul_f64_e32 v[42:43], v[119:120], v[42:43]
	v_fma_f64 v[64:65], v[64:65], v[0:1], v[110:111]
	s_wait_loadcnt_dscnt 0x908
	v_mul_f64_e32 v[110:111], v[125:126], v[46:47]
	v_mul_f64_e32 v[46:47], v[123:124], v[46:47]
	v_fma_f64 v[98:99], v[98:99], v[4:5], v[167:168]
	s_wait_loadcnt 0x8
	v_mul_f64_e32 v[167:168], v[133:134], v[30:31]
	v_mul_f64_e32 v[30:31], v[131:132], v[30:31]
	s_wait_loadcnt_dscnt 0x706
	v_mul_f64_e32 v[177:178], v[137:138], v[26:27]
	v_mul_f64_e32 v[26:27], v[135:136], v[26:27]
	s_wait_loadcnt 0x5
	v_mul_f64_e32 v[175:176], v[129:130], v[14:15]
	v_mul_f64_e32 v[14:15], v[127:128], v[14:15]
	v_fma_f64 v[102:103], v[102:103], v[8:9], v[169:170]
	s_wait_dscnt 0x5
	v_mul_f64_e32 v[169:170], v[141:142], v[38:39]
	v_mul_f64_e32 v[179:180], v[139:140], v[38:39]
	s_wait_loadcnt_dscnt 0x404
	v_mul_f64_e32 v[181:182], v[145:146], v[34:35]
	v_mul_f64_e32 v[34:35], v[143:144], v[34:35]
	v_fma_f64 v[94:95], v[94:95], v[52:53], v[171:172]
	v_fma_f64 v[52:53], v[96:97], v[52:53], -v[54:55]
	s_wait_loadcnt_dscnt 0x303
	v_mul_f64_e32 v[54:55], v[149:150], v[22:23]
	v_mul_f64_e32 v[22:23], v[147:148], v[22:23]
	s_wait_loadcnt_dscnt 0x201
	v_mul_f64_e32 v[96:97], v[157:158], v[18:19]
	v_mul_f64_e32 v[18:19], v[155:156], v[18:19]
	v_fma_f64 v[106:107], v[106:107], v[56:57], v[173:174]
	v_fma_f64 v[56:57], v[108:109], v[56:57], -v[58:59]
	s_wait_loadcnt 0x1
	v_mul_f64_e32 v[58:59], v[153:154], v[50:51]
	v_mul_f64_e32 v[50:51], v[151:152], v[50:51]
	s_wait_loadcnt_dscnt 0x0
	v_mul_f64_e32 v[108:109], v[161:162], v[62:63]
	v_mul_f64_e32 v[62:63], v[159:160], v[62:63]
	v_fma_f64 v[66:67], v[66:67], v[0:1], -v[2:3]
	v_fma_f64 v[100:101], v[100:101], v[4:5], -v[6:7]
	;; [unrolled: 1-line block ×3, first 2 shown]
	v_lshlrev_b32_e32 v0, 4, v78
	v_fma_f64 v[77:78], v[119:120], v[40:41], v[91:92]
	v_fma_f64 v[42:43], v[121:122], v[40:41], -v[42:43]
	s_delay_alu instid0(VALU_DEP_3)
	v_add3_u32 v206, 0, v183, v0
	ds_load_b128 v[0:3], v118
	ds_load_b128 v[4:7], v118 offset:1008
	ds_load_b128 v[8:11], v118 offset:2016
	;; [unrolled: 1-line block ×3, first 2 shown]
	v_fma_f64 v[85:86], v[123:124], v[44:45], v[110:111]
	v_fma_f64 v[44:45], v[125:126], v[44:45], -v[46:47]
	v_fma_f64 v[89:90], v[131:132], v[28:29], v[167:168]
	v_fma_f64 v[28:29], v[133:134], v[28:29], -v[30:31]
	;; [unrolled: 2-line block ×6, first 2 shown]
	v_add_f64_e32 v[123:124], v[102:103], v[94:95]
	v_fma_f64 v[34:35], v[147:148], v[20:21], v[54:55]
	v_fma_f64 v[54:55], v[149:150], v[20:21], -v[22:23]
	v_fma_f64 v[96:97], v[155:156], v[16:17], v[96:97]
	v_fma_f64 v[121:122], v[157:158], v[16:17], -v[18:19]
	s_wait_dscnt 0x3
	v_add_f64_e32 v[129:130], v[0:1], v[64:65]
	s_wait_dscnt 0x2
	v_add_f64_e32 v[133:134], v[4:5], v[102:103]
	v_fma_f64 v[58:59], v[151:152], v[48:49], v[58:59]
	v_fma_f64 v[48:49], v[153:154], v[48:49], -v[50:51]
	v_fma_f64 v[50:51], v[159:160], v[60:61], v[108:109]
	v_fma_f64 v[60:61], v[161:162], v[60:61], -v[62:63]
	v_add_f64_e32 v[62:63], v[64:65], v[98:99]
	v_add_f64_e32 v[108:109], v[66:67], v[100:101]
	;; [unrolled: 1-line block ×6, first 2 shown]
	ds_load_b128 v[12:15], v118 offset:4032
	ds_load_b128 v[16:19], v118 offset:5040
	v_add_f64_e32 v[131:132], v[6:7], v[104:105]
	s_wait_dscnt 0x3
	v_add_f64_e32 v[141:142], v[8:9], v[106:107]
	v_add_f64_e32 v[139:140], v[10:11], v[56:57]
	ds_load_b128 v[20:23], v118 offset:6048
	ds_load_b128 v[24:27], v118 offset:7056
	v_add_f64_e64 v[66:67], v[66:67], -v[100:101]
	v_add_f64_e64 v[64:65], v[64:65], -v[98:99]
	;; [unrolled: 1-line block ×4, first 2 shown]
	s_wait_dscnt 0x4
	v_add_f64_e32 v[153:154], v[38:39], v[85:86]
	v_add_f64_e64 v[56:57], v[56:57], -v[42:43]
	v_add_f64_e32 v[147:148], v[89:90], v[30:31]
	v_add_f64_e32 v[151:152], v[28:29], v[91:92]
	;; [unrolled: 1-line block ×4, first 2 shown]
	v_add_f64_e64 v[106:107], v[106:107], -v[77:78]
	v_add_f64_e32 v[149:150], v[40:41], v[44:45]
	v_add_f64_e64 v[187:188], v[44:45], -v[87:88]
	v_add_f64_e32 v[155:156], v[110:111], v[119:120]
	v_add_f64_e32 v[159:160], v[36:37], v[32:33]
	s_wait_dscnt 0x2
	v_add_f64_e32 v[169:170], v[18:19], v[36:37]
	v_fma_f64 v[123:124], v[123:124], -0.5, v[4:5]
	v_add_f64_e32 v[161:162], v[12:13], v[89:90]
	s_wait_dscnt 0x1
	v_add_f64_e32 v[179:180], v[22:23], v[54:55]
	v_add_f64_e32 v[167:168], v[34:35], v[96:97]
	v_add_f64_e32 v[171:172], v[54:55], v[121:122]
	v_add_f64_e64 v[193:194], v[54:55], -v[121:122]
	v_add_f64_e64 v[85:86], v[85:86], -v[46:47]
	s_wait_dscnt 0x0
	v_add_f64_e32 v[185:186], v[24:25], v[58:59]
	v_add_f64_e32 v[183:184], v[26:27], v[48:49]
	;; [unrolled: 1-line block ×4, first 2 shown]
	v_fma_f64 v[62:63], v[62:63], -0.5, v[0:1]
	v_fma_f64 v[108:109], v[108:109], -0.5, v[2:3]
	;; [unrolled: 1-line block ×3, first 2 shown]
	v_add_f64_e64 v[197:198], v[58:59], -v[50:51]
	v_fma_f64 v[54:55], v[135:136], -0.5, v[8:9]
	v_fma_f64 v[137:138], v[137:138], -0.5, v[10:11]
	v_add_f64_e32 v[2:3], v[127:128], v[100:101]
	v_add_f64_e32 v[157:158], v[14:15], v[28:29]
	v_add_f64_e64 v[189:190], v[28:29], -v[91:92]
	v_add_f64_e64 v[89:90], v[89:90], -v[30:31]
	v_add_f64_e32 v[0:1], v[129:130], v[98:99]
	v_add_f64_e32 v[173:174], v[16:17], v[110:111]
	v_add_f64_e64 v[191:192], v[36:37], -v[32:33]
	v_add_f64_e64 v[110:111], v[110:111], -v[119:120]
	v_add_f64_e32 v[4:5], v[133:134], v[94:95]
	v_add_f64_e32 v[181:182], v[20:21], v[34:35]
	v_add_f64_e64 v[195:196], v[34:35], -v[96:97]
	v_fma_f64 v[98:99], v[147:148], -0.5, v[12:13]
	v_fma_f64 v[127:128], v[151:152], -0.5, v[14:15]
	;; [unrolled: 1-line block ×4, first 2 shown]
	v_add_f64_e32 v[6:7], v[131:132], v[52:53]
	v_add_f64_e32 v[8:9], v[141:142], v[77:78]
	v_add_f64_e64 v[135:136], v[48:49], -v[60:61]
	v_fma_f64 v[94:95], v[155:156], -0.5, v[16:17]
	v_fma_f64 v[129:130], v[159:160], -0.5, v[18:19]
	v_add_f64_e32 v[10:11], v[139:140], v[42:43]
	v_fma_f64 v[40:41], v[104:105], s[4:5], v[123:124]
	v_add_f64_e32 v[12:13], v[153:154], v[46:47]
	v_fma_f64 v[44:45], v[104:105], s[10:11], v[123:124]
	v_fma_f64 v[77:78], v[167:168], -0.5, v[20:21]
	v_fma_f64 v[131:132], v[171:172], -0.5, v[22:23]
	v_add_f64_e32 v[22:23], v[169:170], v[32:33]
	v_add_f64_e32 v[14:15], v[149:150], v[87:88]
	;; [unrolled: 1-line block ×4, first 2 shown]
	v_fma_f64 v[133:134], v[175:176], -0.5, v[24:25]
	v_fma_f64 v[139:140], v[177:178], -0.5, v[26:27]
	v_fma_f64 v[32:33], v[66:67], s[4:5], v[62:63]
	v_fma_f64 v[34:35], v[64:65], s[10:11], v[108:109]
	;; [unrolled: 1-line block ×10, first 2 shown]
	v_add_f64_e32 v[30:31], v[183:184], v[60:61]
	v_add_f64_e32 v[18:19], v[157:158], v[91:92]
	;; [unrolled: 1-line block ×4, first 2 shown]
	global_wb scope:SCOPE_SE
	v_add_f64_e32 v[24:25], v[181:182], v[96:97]
	s_barrier_signal -1
	v_fma_f64 v[64:65], v[189:190], s[4:5], v[98:99]
	v_fma_f64 v[66:67], v[89:90], s[10:11], v[127:128]
	;; [unrolled: 1-line block ×12, first 2 shown]
	s_barrier_wait -1
	v_fma_f64 v[98:99], v[193:194], s[4:5], v[77:78]
	v_fma_f64 v[100:101], v[195:196], s[10:11], v[131:132]
	;; [unrolled: 1-line block ×4, first 2 shown]
	v_lshlrev_b32_e32 v77, 4, v82
	v_lshlrev_b32_e32 v78, 4, v83
	v_fma_f64 v[106:107], v[135:136], s[4:5], v[133:134]
	v_fma_f64 v[108:109], v[197:198], s[10:11], v[139:140]
	;; [unrolled: 1-line block ×4, first 2 shown]
	v_lshlrev_b32_e32 v82, 4, v84
	v_add3_u32 v83, 0, v205, v208
	v_add3_u32 v84, 0, v200, v209
	;; [unrolled: 1-line block ×5, first 2 shown]
	global_inv scope:SCOPE_SE
	ds_store_b128 v206, v[0:3]
	ds_store_b128 v206, v[32:35] offset:384
	ds_store_b128 v206, v[36:39] offset:768
	ds_store_b128 v79, v[4:7]
	ds_store_b128 v79, v[40:43] offset:384
	ds_store_b128 v79, v[44:47] offset:768
	ds_store_b128 v81, v[8:11]
	ds_store_b128 v81, v[48:51] offset:384
	ds_store_b128 v81, v[52:55] offset:768
	ds_store_b128 v83, v[12:15]
	ds_store_b128 v83, v[56:59] offset:384
	ds_store_b128 v83, v[60:63] offset:768
	ds_store_b128 v84, v[16:19]
	ds_store_b128 v84, v[64:67] offset:384
	ds_store_b128 v84, v[85:88] offset:768
	ds_store_b128 v77, v[20:23]
	ds_store_b128 v77, v[89:92] offset:384
	ds_store_b128 v77, v[94:97] offset:768
	ds_store_b128 v78, v[24:27]
	ds_store_b128 v78, v[98:101] offset:384
	ds_store_b128 v78, v[102:105] offset:768
	ds_store_b128 v82, v[28:31]
	ds_store_b128 v82, v[106:109] offset:384
	ds_store_b128 v82, v[119:122] offset:768
	v_add_co_u32 v0, s0, s8, v165
	global_wb scope:SCOPE_SE
	s_wait_dscnt 0x0
	s_barrier_signal -1
	s_barrier_wait -1
	global_inv scope:SCOPE_SE
	global_load_b128 v[17:20], v[163:164], off offset:1120
	s_wait_alu 0xf1ff
	v_add_co_ci_u32_e64 v1, s0, s9, v166, s0
	global_load_b128 v[21:24], v[163:164], off offset:1136
	v_mul_lo_u16 v2, 0x48, v93
	v_mul_lo_u16 v3, 0x48, v80
	s_clause 0x1
	global_load_b128 v[29:32], v[0:1], off offset:1136
	global_load_b128 v[25:28], v[0:1], off offset:1120
	v_mul_lo_u16 v4, 0x48, v76
	v_sub_nc_u16 v2, v71, v2
	v_mul_lo_u16 v5, 0x48, v69
	v_sub_nc_u16 v3, v113, v3
	;; [unrolled: 2-line block ×3, first 2 shown]
	v_and_b32_e32 v67, 0xff, v2
	v_sub_nc_u16 v5, v72, v5
	v_and_b32_e32 v13, 0xff, v3
	v_mul_lo_u16 v2, 0x48, v199
	v_sub_nc_u16 v6, v74, v6
	v_lshlrev_b32_e32 v3, 5, v67
	v_and_b32_e32 v14, 0xffff, v4
	v_and_b32_e32 v15, 0xffff, v5
	v_sub_nc_u16 v5, v73, v2
	v_and_b32_e32 v16, 0xffff, v6
	global_load_b128 v[37:40], v3, s[8:9] offset:1136
	v_lshlrev_b32_e32 v0, 5, v13
	global_load_b128 v[33:36], v3, s[8:9] offset:1120
	v_lshlrev_b32_e32 v1, 5, v14
	v_lshlrev_b32_e32 v4, 5, v15
	v_and_b32_e32 v12, 0xffff, v5
	s_clause 0x2
	global_load_b128 v[41:44], v0, s[8:9] offset:1120
	global_load_b128 v[45:48], v0, s[8:9] offset:1136
	;; [unrolled: 1-line block ×3, first 2 shown]
	v_lshlrev_b32_e32 v6, 5, v16
	s_clause 0x3
	global_load_b128 v[53:56], v1, s[8:9] offset:1136
	global_load_b128 v[0:3], v4, s[8:9] offset:1120
	;; [unrolled: 1-line block ×4, first 2 shown]
	v_lshlrev_b32_e32 v65, 5, v12
	s_clause 0x2
	global_load_b128 v[4:7], v6, s[8:9] offset:1136
	global_load_b128 v[61:64], v65, s[8:9] offset:1120
	;; [unrolled: 1-line block ×3, first 2 shown]
	ds_load_b128 v[81:84], v118 offset:8064
	ds_load_b128 v[85:88], v118 offset:16128
	;; [unrolled: 1-line block ×4, first 2 shown]
	v_lshlrev_b32_e32 v110, 4, v75
	ds_load_b128 v[98:101], v118 offset:10080
	ds_load_b128 v[102:105], v118 offset:18144
	ds_load_b128 v[106:109], v118 offset:11088
	ds_load_b128 v[123:126], v118 offset:12096
	ds_load_b128 v[119:122], v118 offset:19152
	ds_load_b128 v[127:130], v118 offset:20160
	v_cmp_lt_u32_e64 s0, 8, v112
	ds_load_b128 v[131:134], v118 offset:13104
	ds_load_b128 v[135:138], v118 offset:21168
	;; [unrolled: 1-line block ×6, first 2 shown]
	v_mul_u32_u24_e32 v182, 0xd80, v68
	v_lshlrev_b32_e32 v185, 4, v67
	v_mul_u32_u24_e32 v181, 0xd80, v69
	s_wait_alu 0xf1ff
	v_cndmask_b32_e64 v79, 0, 0xd80, s0
	v_mul_u32_u24_e32 v180, 0xd80, v76
	v_lshlrev_b32_e32 v13, 4, v13
	v_lshlrev_b32_e32 v14, 4, v14
	;; [unrolled: 1-line block ×3, first 2 shown]
	v_add3_u32 v179, 0, v79, v110
	v_lshlrev_b32_e32 v16, 4, v16
	v_lshl_add_u32 v12, v12, 4, 0
	v_add3_u32 v14, 0, v180, v14
	v_add3_u32 v15, 0, v181, v15
	v_cmp_gt_u32_e64 s0, 27, v112
	v_add3_u32 v16, 0, v182, v16
	s_wait_loadcnt_dscnt 0xf0f
	v_mul_f64_e32 v[65:66], v[83:84], v[19:20]
	v_mul_f64_e32 v[19:20], v[81:82], v[19:20]
	s_wait_loadcnt_dscnt 0xe0e
	v_mul_f64_e32 v[77:78], v[87:88], v[23:24]
	v_mul_f64_e32 v[23:24], v[85:86], v[23:24]
	s_wait_loadcnt_dscnt 0xd0c
	v_mul_f64_e32 v[110:111], v[96:97], v[31:32]
	s_wait_loadcnt 0xc
	v_mul_f64_e32 v[74:75], v[91:92], v[27:28]
	v_mul_f64_e32 v[27:28], v[89:90], v[27:28]
	;; [unrolled: 1-line block ×3, first 2 shown]
	s_wait_loadcnt_dscnt 0xb0a
	v_mul_f64_e32 v[157:158], v[104:105], v[39:40]
	v_mul_f64_e32 v[39:40], v[102:103], v[39:40]
	s_wait_loadcnt 0xa
	v_mul_f64_e32 v[155:156], v[100:101], v[35:36]
	v_mul_f64_e32 v[35:36], v[98:99], v[35:36]
	s_wait_loadcnt_dscnt 0x909
	v_mul_f64_e32 v[159:160], v[108:109], v[43:44]
	v_mul_f64_e32 v[43:44], v[106:107], v[43:44]
	s_wait_loadcnt_dscnt 0x807
	v_mul_f64_e32 v[161:162], v[121:122], v[47:48]
	v_mul_f64_e32 v[47:48], v[119:120], v[47:48]
	s_wait_loadcnt 0x7
	v_mul_f64_e32 v[163:164], v[125:126], v[51:52]
	v_mul_f64_e32 v[51:52], v[123:124], v[51:52]
	s_wait_loadcnt_dscnt 0x606
	v_mul_f64_e32 v[165:166], v[129:130], v[55:56]
	v_mul_f64_e32 v[55:56], v[127:128], v[55:56]
	s_wait_loadcnt_dscnt 0x505
	v_mul_f64_e32 v[167:168], v[133:134], v[2:3]
	v_mul_f64_e32 v[2:3], v[131:132], v[2:3]
	v_fma_f64 v[65:66], v[81:82], v[17:18], v[65:66]
	v_fma_f64 v[81:82], v[83:84], v[17:18], -v[19:20]
	s_wait_loadcnt_dscnt 0x404
	v_mul_f64_e32 v[83:84], v[137:138], v[59:60]
	v_mul_f64_e32 v[59:60], v[135:136], v[59:60]
	s_wait_loadcnt_dscnt 0x303
	v_mul_f64_e32 v[169:170], v[141:142], v[10:11]
	v_mul_f64_e32 v[10:11], v[139:140], v[10:11]
	v_fma_f64 v[77:78], v[85:86], v[21:22], v[77:78]
	v_fma_f64 v[85:86], v[87:88], v[21:22], -v[23:24]
	s_wait_loadcnt_dscnt 0x201
	v_mul_f64_e32 v[87:88], v[149:150], v[6:7]
	v_mul_f64_e32 v[6:7], v[147:148], v[6:7]
	s_wait_loadcnt 0x1
	v_mul_f64_e32 v[171:172], v[145:146], v[63:64]
	v_mul_f64_e32 v[63:64], v[143:144], v[63:64]
	v_fma_f64 v[74:75], v[89:90], v[25:26], v[74:75]
	v_fma_f64 v[89:90], v[91:92], v[25:26], -v[27:28]
	s_wait_loadcnt_dscnt 0x0
	v_mul_f64_e32 v[91:92], v[153:154], v[72:73]
	v_mul_f64_e32 v[72:73], v[151:152], v[72:73]
	v_and_b32_e32 v18, 0xffff, v80
	v_fma_f64 v[67:68], v[94:95], v[29:30], v[110:111]
	v_fma_f64 v[79:80], v[96:97], v[29:30], -v[31:32]
	v_and_b32_e32 v17, 0xffff, v93
	s_delay_alu instid0(VALU_DEP_4)
	v_mul_u32_u24_e32 v184, 0xd80, v18
	v_fma_f64 v[93:94], v[98:99], v[33:34], v[155:156]
	v_fma_f64 v[95:96], v[100:101], v[33:34], -v[35:36]
	v_fma_f64 v[97:98], v[102:103], v[37:38], v[157:158]
	v_fma_f64 v[37:38], v[104:105], v[37:38], -v[39:40]
	;; [unrolled: 2-line block ×7, first 2 shown]
	v_mul_u32_u24_e32 v183, 0xd80, v17
	ds_load_b128 v[17:20], v118
	ds_load_b128 v[21:24], v118 offset:1008
	v_fma_f64 v[83:84], v[135:136], v[57:58], v[83:84]
	v_fma_f64 v[57:58], v[137:138], v[57:58], -v[59:60]
	v_fma_f64 v[59:60], v[139:140], v[8:9], v[169:170]
	v_fma_f64 v[101:102], v[141:142], v[8:9], -v[10:11]
	ds_load_b128 v[25:28], v118 offset:2016
	ds_load_b128 v[29:32], v118 offset:3024
	v_add3_u32 v13, 0, v184, v13
	v_fma_f64 v[87:88], v[147:148], v[4:5], v[87:88]
	v_fma_f64 v[103:104], v[149:150], v[4:5], -v[6:7]
	v_fma_f64 v[105:106], v[143:144], v[61:62], v[171:172]
	v_fma_f64 v[61:62], v[145:146], v[61:62], -v[63:64]
	ds_load_b128 v[0:3], v118 offset:4032
	ds_load_b128 v[4:7], v118 offset:5040
	;; [unrolled: 1-line block ×4, first 2 shown]
	global_wb scope:SCOPE_SE
	s_wait_dscnt 0x0
	v_fma_f64 v[63:64], v[151:152], v[70:71], v[91:92]
	v_fma_f64 v[69:70], v[153:154], v[70:71], -v[72:73]
	v_add_f64_e32 v[71:72], v[65:66], v[77:78]
	v_add_f64_e32 v[91:92], v[81:82], v[85:86]
	;; [unrolled: 1-line block ×6, first 2 shown]
	v_add_f64_e64 v[73:74], v[74:75], -v[67:68]
	v_add_f64_e32 v[107:108], v[17:18], v[65:66]
	v_add_f64_e64 v[81:82], v[81:82], -v[85:86]
	v_add_f64_e64 v[65:66], v[65:66], -v[77:78]
	v_add_f64_e32 v[75:76], v[93:94], v[97:98]
	v_add_f64_e32 v[127:128], v[95:96], v[37:38]
	;; [unrolled: 1-line block ×6, first 2 shown]
	v_add_f64_e64 v[147:148], v[41:42], -v[45:46]
	v_add_f64_e64 v[149:150], v[39:40], -v[43:44]
	v_add_f64_e32 v[137:138], v[47:48], v[51:52]
	v_add_f64_e32 v[141:142], v[49:50], v[53:54]
	;; [unrolled: 1-line block ×3, first 2 shown]
	v_add_f64_e64 v[159:160], v[49:50], -v[53:54]
	v_add_f64_e32 v[155:156], v[0:1], v[47:48]
	v_add_f64_e64 v[161:162], v[47:48], -v[51:52]
	v_add_f64_e32 v[145:146], v[55:56], v[83:84]
	v_add_f64_e32 v[41:42], v[99:100], v[57:58]
	;; [unrolled: 1-line block ×5, first 2 shown]
	v_add_f64_e64 v[89:90], v[89:90], -v[79:80]
	v_add_f64_e32 v[39:40], v[59:60], v[87:88]
	v_add_f64_e32 v[153:154], v[101:102], v[103:104]
	;; [unrolled: 1-line block ×3, first 2 shown]
	v_add_f64_e64 v[95:96], v[95:96], -v[37:38]
	v_add_f64_e64 v[93:94], v[93:94], -v[97:98]
	v_add_f64_e32 v[171:172], v[33:34], v[105:106]
	v_add_f64_e32 v[157:158], v[105:106], v[63:64]
	v_add_f64_e32 v[49:50], v[61:62], v[69:70]
	v_fma_f64 v[71:72], v[71:72], -0.5, v[17:18]
	v_fma_f64 v[91:92], v[91:92], -0.5, v[19:20]
	;; [unrolled: 1-line block ×4, first 2 shown]
	v_add_f64_e32 v[169:170], v[35:36], v[61:62]
	v_add_f64_e32 v[19:20], v[109:110], v[85:86]
	;; [unrolled: 1-line block ×5, first 2 shown]
	v_add_f64_e64 v[99:100], v[99:100], -v[57:58]
	v_fma_f64 v[75:76], v[75:76], -0.5, v[25:26]
	v_fma_f64 v[127:128], v[127:128], -0.5, v[27:28]
	v_add_f64_e64 v[173:174], v[55:56], -v[83:84]
	v_add_f64_e32 v[165:166], v[10:11], v[101:102]
	v_fma_f64 v[133:134], v[133:134], -0.5, v[29:30]
	v_fma_f64 v[85:86], v[135:136], -0.5, v[31:32]
	v_add_f64_e64 v[101:102], v[101:102], -v[103:104]
	v_add_f64_e64 v[175:176], v[59:60], -v[87:88]
	v_fma_f64 v[107:108], v[137:138], -0.5, v[0:1]
	v_fma_f64 v[109:110], v[141:142], -0.5, v[2:3]
	v_add_f64_e64 v[177:178], v[61:62], -v[69:70]
	v_add_f64_e64 v[105:106], v[105:106], -v[63:64]
	v_add_f64_e32 v[21:22], v[123:124], v[67:68]
	v_add_f64_e32 v[31:32], v[139:140], v[45:46]
	v_fma_f64 v[4:5], v[145:146], -0.5, v[4:5]
	v_fma_f64 v[6:7], v[41:42], -0.5, v[6:7]
	v_add_f64_e32 v[41:42], v[47:48], v[57:58]
	v_add_f64_e32 v[27:28], v[129:130], v[37:38]
	;; [unrolled: 1-line block ×4, first 2 shown]
	v_fma_f64 v[8:9], v[39:40], -0.5, v[8:9]
	v_fma_f64 v[10:11], v[153:154], -0.5, v[10:11]
	v_add_f64_e32 v[25:26], v[131:132], v[97:98]
	v_add_f64_e32 v[29:30], v[143:144], v[43:44]
	s_barrier_signal -1
	v_add_f64_e32 v[0:1], v[171:172], v[63:64]
	v_fma_f64 v[33:34], v[157:158], -0.5, v[33:34]
	v_fma_f64 v[123:124], v[49:50], -0.5, v[35:36]
	v_fma_f64 v[47:48], v[81:82], s[4:5], v[71:72]
	v_fma_f64 v[49:50], v[65:66], s[10:11], v[91:92]
	v_add_f64_e32 v[35:36], v[155:156], v[51:52]
	v_fma_f64 v[51:52], v[81:82], s[10:11], v[71:72]
	v_fma_f64 v[53:54], v[65:66], s[4:5], v[91:92]
	v_fma_f64 v[55:56], v[89:90], s[4:5], v[119:120]
	v_fma_f64 v[57:58], v[73:74], s[10:11], v[121:122]
	v_fma_f64 v[59:60], v[89:90], s[10:11], v[119:120]
	v_fma_f64 v[61:62], v[73:74], s[4:5], v[121:122]
	v_add_f64_e32 v[2:3], v[169:170], v[69:70]
	v_fma_f64 v[63:64], v[95:96], s[4:5], v[75:76]
	v_fma_f64 v[65:66], v[93:94], s[10:11], v[127:128]
	;; [unrolled: 1-line block ×10, first 2 shown]
	v_add_f64_e32 v[39:40], v[163:164], v[83:84]
	v_fma_f64 v[83:84], v[159:160], s[10:11], v[107:108]
	v_fma_f64 v[85:86], v[161:162], s[4:5], v[109:110]
	v_add_f64_e32 v[43:44], v[167:168], v[87:88]
	v_fma_f64 v[87:88], v[99:100], s[4:5], v[4:5]
	v_fma_f64 v[89:90], v[173:174], s[10:11], v[6:7]
	;; [unrolled: 1-line block ×4, first 2 shown]
	v_add_f64_e32 v[45:46], v[165:166], v[103:104]
	s_barrier_wait -1
	v_fma_f64 v[95:96], v[101:102], s[4:5], v[8:9]
	v_fma_f64 v[97:98], v[175:176], s[10:11], v[10:11]
	;; [unrolled: 1-line block ×4, first 2 shown]
	global_inv scope:SCOPE_SE
	v_fma_f64 v[4:5], v[177:178], s[4:5], v[33:34]
	v_fma_f64 v[6:7], v[105:106], s[10:11], v[123:124]
	;; [unrolled: 1-line block ×4, first 2 shown]
	v_add3_u32 v33, 0, v183, v185
	ds_store_b128 v118, v[17:20]
	ds_store_b128 v118, v[47:50] offset:1152
	ds_store_b128 v118, v[51:54] offset:2304
	ds_store_b128 v179, v[21:24]
	ds_store_b128 v179, v[55:58] offset:1152
	ds_store_b128 v179, v[59:62] offset:2304
	;; [unrolled: 3-line block ×7, first 2 shown]
	ds_store_b128 v12, v[0:3] offset:20736
	ds_store_b128 v12, v[4:7] offset:21888
	ds_store_b128 v12, v[8:11] offset:23040
	global_wb scope:SCOPE_SE
	s_wait_dscnt 0x0
	s_barrier_signal -1
	s_barrier_wait -1
	global_inv scope:SCOPE_SE
	ds_load_b128 v[36:39], v118
	ds_load_b128 v[32:35], v118 offset:1008
	ds_load_b128 v[100:103], v118 offset:6912
	;; [unrolled: 1-line block ×20, first 2 shown]
                                        ; implicit-def: $vgpr26_vgpr27
                                        ; implicit-def: $vgpr22_vgpr23
                                        ; implicit-def: $vgpr18_vgpr19
                                        ; implicit-def: $vgpr14_vgpr15
	s_and_saveexec_b32 s1, s0
	s_cbranch_execz .LBB0_21
; %bb.20:
	ds_load_b128 v[0:3], v118 offset:3024
	ds_load_b128 v[4:7], v118 offset:6480
	;; [unrolled: 1-line block ×7, first 2 shown]
.LBB0_21:
	s_wait_alu 0xfffe
	s_or_b32 exec_lo, exec_lo, s1
	v_mul_u32_u24_e32 v119, 6, v112
	s_mov_b32 s12, 0x37e14327
	s_mov_b32 s4, 0x36b3c0b5
	s_mov_b32 s16, 0xe976ee23
	s_mov_b32 s10, 0x429ad128
	v_lshlrev_b32_e32 v187, 4, v119
	s_mov_b32 s13, 0x3fe948f6
	s_mov_b32 s5, 0x3fac98ee
	;; [unrolled: 1-line block ×4, first 2 shown]
	s_clause 0x11
	global_load_b128 v[119:122], v187, s[8:9] offset:3424
	global_load_b128 v[123:126], v187, s[8:9] offset:3440
	;; [unrolled: 1-line block ×18, first 2 shown]
	s_mov_b32 s14, 0xaaaaaaaa
	s_mov_b32 s18, 0x5476071b
	;; [unrolled: 1-line block ×12, first 2 shown]
	global_wb scope:SCOPE_SE
	s_wait_loadcnt_dscnt 0x0
	s_barrier_signal -1
	s_barrier_wait -1
	global_inv scope:SCOPE_SE
	v_mul_f64_e32 v[191:192], v[110:111], v[121:122]
	v_mul_f64_e32 v[121:122], v[108:109], v[121:122]
	;; [unrolled: 1-line block ×14, first 2 shown]
	v_fma_f64 v[108:109], v[108:109], v[119:120], v[191:192]
	v_fma_f64 v[110:111], v[110:111], v[119:120], -v[121:122]
	v_mul_f64_e32 v[119:120], v[86:87], v[149:150]
	v_mul_f64_e32 v[121:122], v[84:85], v[149:150]
	v_mul_f64_e32 v[149:150], v[74:75], v[153:154]
	v_mul_f64_e32 v[153:154], v[72:73], v[153:154]
	v_fma_f64 v[100:101], v[100:101], v[123:124], v[193:194]
	v_fma_f64 v[102:103], v[102:103], v[123:124], -v[125:126]
	v_mul_f64_e32 v[123:124], v[90:91], v[157:158]
	v_mul_f64_e32 v[125:126], v[88:89], v[157:158]
	v_mul_f64_e32 v[157:158], v[62:63], v[161:162]
	v_mul_f64_e32 v[161:162], v[60:61], v[161:162]
	;; [unrolled: 6-line block ×3, first 2 shown]
	v_fma_f64 v[96:97], v[96:97], v[131:132], v[197:198]
	v_fma_f64 v[98:99], v[98:99], v[131:132], -v[133:134]
	v_mul_f64_e32 v[131:132], v[76:77], v[173:174]
	v_mul_f64_e32 v[133:134], v[68:69], v[169:170]
	v_mul_f64_e32 v[169:170], v[54:55], v[177:178]
	v_fma_f64 v[92:93], v[92:93], v[135:136], v[199:200]
	v_fma_f64 v[94:95], v[94:95], v[135:136], -v[137:138]
	v_mul_f64_e32 v[135:136], v[50:51], v[181:182]
	v_mul_f64_e32 v[173:174], v[52:53], v[177:178]
	;; [unrolled: 1-line block ×5, first 2 shown]
	v_fma_f64 v[80:81], v[80:81], v[139:140], v[201:202]
	v_fma_f64 v[82:83], v[82:83], v[139:140], -v[141:142]
	v_fma_f64 v[56:57], v[56:57], v[143:144], v[203:204]
	v_fma_f64 v[58:59], v[58:59], v[143:144], -v[145:146]
	;; [unrolled: 2-line block ×3, first 2 shown]
	v_mul_f64_e32 v[119:120], v[46:47], v[189:190]
	v_mul_f64_e32 v[121:122], v[44:45], v[189:190]
	v_fma_f64 v[72:73], v[72:73], v[151:152], v[149:150]
	v_fma_f64 v[74:75], v[74:75], v[151:152], -v[153:154]
	v_fma_f64 v[88:89], v[88:89], v[155:156], v[123:124]
	v_fma_f64 v[90:91], v[90:91], v[155:156], -v[125:126]
	;; [unrolled: 2-line block ×4, first 2 shown]
	v_fma_f64 v[68:69], v[68:69], v[167:168], v[165:166]
	v_fma_f64 v[76:77], v[76:77], v[171:172], v[191:192]
	v_add_f64_e32 v[123:124], v[108:109], v[96:97]
	v_add_f64_e32 v[125:126], v[110:111], v[98:99]
	v_fma_f64 v[78:79], v[78:79], v[171:172], -v[131:132]
	v_fma_f64 v[70:71], v[70:71], v[167:168], -v[133:134]
	v_fma_f64 v[52:53], v[52:53], v[175:176], v[169:170]
	v_add_f64_e32 v[127:128], v[100:101], v[104:105]
	v_add_f64_e32 v[129:130], v[102:103], v[106:107]
	v_fma_f64 v[48:49], v[48:49], v[179:180], v[135:136]
	v_fma_f64 v[54:55], v[54:55], v[175:176], -v[173:174]
	v_fma_f64 v[50:51], v[50:51], v[179:180], -v[137:138]
	v_fma_f64 v[40:41], v[40:41], v[183:184], v[177:178]
	v_fma_f64 v[42:43], v[42:43], v[183:184], -v[181:182]
	v_add_f64_e64 v[100:101], v[100:101], -v[104:105]
	v_add_f64_e64 v[102:103], v[102:103], -v[106:107]
	v_add_f64_e32 v[104:105], v[80:81], v[56:57]
	v_add_f64_e32 v[135:136], v[82:83], v[58:59]
	v_add_f64_e64 v[56:57], v[56:57], -v[80:81]
	v_add_f64_e64 v[58:59], v[58:59], -v[82:83]
	;; [unrolled: 1-line block ×4, first 2 shown]
	v_fma_f64 v[44:45], v[44:45], v[187:188], v[119:120]
	v_fma_f64 v[46:47], v[46:47], v[187:188], -v[121:122]
	v_add_f64_e32 v[119:120], v[92:93], v[72:73]
	v_add_f64_e32 v[121:122], v[94:95], v[74:75]
	;; [unrolled: 1-line block ×4, first 2 shown]
	v_add_f64_e64 v[84:85], v[84:85], -v[88:89]
	v_add_f64_e64 v[86:87], v[86:87], -v[90:91]
	v_add_f64_e32 v[106:107], v[64:65], v[68:69]
	v_add_f64_e32 v[80:81], v[60:61], v[76:77]
	v_add_f64_e64 v[64:65], v[64:65], -v[68:69]
	v_add_f64_e64 v[60:61], v[60:61], -v[76:77]
	v_add_f64_e32 v[82:83], v[62:63], v[78:79]
	v_add_f64_e32 v[137:138], v[66:67], v[70:71]
	;; [unrolled: 4-line block ×3, first 2 shown]
	v_add_f64_e64 v[48:49], v[48:49], -v[52:53]
	v_add_f64_e32 v[52:53], v[127:128], v[123:124]
	v_add_f64_e32 v[110:111], v[54:55], v[50:51]
	v_add_f64_e64 v[50:51], v[50:51], -v[54:55]
	v_add_f64_e64 v[54:55], v[92:93], -v[72:73]
	;; [unrolled: 1-line block ×8, first 2 shown]
	v_add_f64_e32 v[125:126], v[58:59], v[102:103]
	v_add_f64_e64 v[141:142], v[58:59], -v[102:103]
	v_add_f64_e64 v[102:103], v[102:103], -v[98:99]
	;; [unrolled: 1-line block ×3, first 2 shown]
	v_add_f64_e32 v[68:69], v[40:41], v[44:45]
	v_add_f64_e64 v[40:41], v[44:45], -v[40:41]
	v_add_f64_e32 v[70:71], v[42:43], v[46:47]
	v_add_f64_e64 v[42:43], v[46:47], -v[42:43]
	v_add_f64_e32 v[44:45], v[131:132], v[119:120]
	v_add_f64_e32 v[74:75], v[133:134], v[121:122]
	v_add_f64_e64 v[46:47], v[127:128], -v[123:124]
	v_add_f64_e32 v[123:124], v[56:57], v[100:101]
	v_add_f64_e64 v[127:128], v[56:57], -v[100:101]
	v_add_f64_e64 v[100:101], v[100:101], -v[96:97]
	;; [unrolled: 1-line block ×5, first 2 shown]
	v_add_f64_e32 v[129:130], v[106:107], v[80:81]
	v_add_f64_e64 v[151:152], v[106:107], -v[80:81]
	v_add_f64_e32 v[139:140], v[137:138], v[82:83]
	v_add_f64_e64 v[153:154], v[137:138], -v[82:83]
	;; [unrolled: 2-line block ×3, first 2 shown]
	v_add_f64_e32 v[147:148], v[48:49], v[84:85]
	v_add_f64_e32 v[52:53], v[104:105], v[52:53]
	v_add_f64_e64 v[121:122], v[121:122], -v[110:111]
	v_add_f64_e32 v[104:105], v[50:51], v[86:87]
	v_add_f64_e64 v[135:136], v[48:49], -v[84:85]
	v_add_f64_e64 v[149:150], v[50:51], -v[86:87]
	;; [unrolled: 1-line block ×6, first 2 shown]
	v_mul_f64_e32 v[78:79], s[12:13], v[78:79]
	v_mul_f64_e32 v[90:91], s[12:13], v[90:91]
	;; [unrolled: 1-line block ×3, first 2 shown]
	v_add_f64_e32 v[98:99], v[125:126], v[98:99]
	s_wait_alu 0xfffe
	v_mul_f64_e32 v[125:126], s[10:11], v[102:103]
	v_add_f64_e64 v[48:49], v[54:55], -v[48:49]
	v_add_f64_e64 v[80:81], v[80:81], -v[68:69]
	v_add_f64_e32 v[155:156], v[40:41], v[64:65]
	v_add_f64_e64 v[82:83], v[82:83], -v[70:71]
	v_add_f64_e64 v[106:107], v[68:69], -v[106:107]
	v_add_f64_e32 v[44:45], v[108:109], v[44:45]
	v_add_f64_e32 v[74:75], v[110:111], v[74:75]
	v_add_f64_e64 v[110:111], v[40:41], -v[64:65]
	v_add_f64_e64 v[157:158], v[42:43], -v[66:67]
	;; [unrolled: 1-line block ×3, first 2 shown]
	v_add_f64_e32 v[108:109], v[42:43], v[66:67]
	v_add_f64_e64 v[64:65], v[64:65], -v[60:61]
	v_add_f64_e64 v[66:67], v[66:67], -v[62:63]
	v_mul_f64_e32 v[127:128], s[16:17], v[127:128]
	v_add_f64_e32 v[68:69], v[68:69], v[129:130]
	v_mul_f64_e32 v[129:130], s[4:5], v[92:93]
	v_add_f64_e32 v[96:97], v[123:124], v[96:97]
	;; [unrolled: 2-line block ×3, first 2 shown]
	v_mul_f64_e32 v[139:140], s[4:5], v[94:95]
	v_add_f64_e64 v[50:51], v[72:73], -v[50:51]
	v_add_f64_e32 v[38:39], v[38:39], v[88:89]
	v_mul_f64_e32 v[119:120], s[12:13], v[119:120]
	v_add_f64_e32 v[54:55], v[147:148], v[54:55]
	v_add_f64_e32 v[36:37], v[36:37], v[52:53]
	v_mul_f64_e32 v[121:122], s[12:13], v[121:122]
	v_add_f64_e32 v[72:73], v[104:105], v[72:73]
	v_mul_f64_e32 v[135:136], s[16:17], v[135:136]
	v_mul_f64_e32 v[147:148], s[16:17], v[149:150]
	;; [unrolled: 1-line block ×6, first 2 shown]
	v_add_f64_e64 v[40:41], v[60:61], -v[40:41]
	v_add_f64_e64 v[42:43], v[62:63], -v[42:43]
	v_fma_f64 v[92:93], v[92:93], s[4:5], v[78:79]
	v_fma_f64 v[94:95], v[94:95], s[4:5], v[90:91]
	v_fma_f64 v[102:103], v[102:103], s[10:11], -v[141:142]
	v_mul_f64_e32 v[80:81], s[12:13], v[80:81]
	v_add_f64_e32 v[60:61], v[155:156], v[60:61]
	v_mul_f64_e32 v[82:83], s[12:13], v[82:83]
	v_add_f64_e32 v[32:33], v[32:33], v[44:45]
	v_add_f64_e32 v[34:35], v[34:35], v[74:75]
	v_mul_f64_e32 v[110:111], s[16:17], v[110:111]
	v_mul_f64_e32 v[155:156], s[16:17], v[157:158]
	;; [unrolled: 1-line block ×3, first 2 shown]
	v_add_f64_e32 v[62:63], v[108:109], v[62:63]
	v_mul_f64_e32 v[163:164], s[10:11], v[64:65]
	v_mul_f64_e32 v[165:166], s[10:11], v[66:67]
	;; [unrolled: 1-line block ×3, first 2 shown]
	v_add_f64_e32 v[28:29], v[28:29], v[68:69]
	v_fma_f64 v[129:130], v[46:47], s[18:19], -v[129:130]
	v_fma_f64 v[46:47], v[46:47], s[20:21], -v[78:79]
	v_fma_f64 v[78:79], v[56:57], s[22:23], v[127:128]
	v_add_f64_e32 v[30:31], v[30:31], v[70:71]
	v_fma_f64 v[139:140], v[76:77], s[18:19], -v[139:140]
	v_fma_f64 v[76:77], v[76:77], s[20:21], -v[90:91]
	v_fma_f64 v[90:91], v[58:59], s[22:23], v[141:142]
	v_fma_f64 v[100:101], v[100:101], s[10:11], -v[127:128]
	v_fma_f64 v[56:57], v[56:57], s[24:25], -v[123:124]
	;; [unrolled: 1-line block ×3, first 2 shown]
	v_fma_f64 v[52:53], v[52:53], s[14:15], v[36:37]
	v_fma_f64 v[88:89], v[88:89], s[14:15], v[38:39]
	;; [unrolled: 1-line block ×4, first 2 shown]
	v_fma_f64 v[119:120], v[143:144], s[20:21], -v[119:120]
	v_fma_f64 v[133:134], v[48:49], s[22:23], v[135:136]
	v_fma_f64 v[141:142], v[50:51], s[22:23], v[147:148]
	v_fma_f64 v[48:49], v[48:49], s[24:25], -v[104:105]
	v_fma_f64 v[50:51], v[50:51], s[24:25], -v[149:150]
	;; [unrolled: 1-line block ×7, first 2 shown]
	v_fma_f64 v[106:107], v[106:107], s[4:5], v[80:81]
	v_fma_f64 v[80:81], v[151:152], s[20:21], -v[80:81]
	v_fma_f64 v[121:122], v[137:138], s[4:5], v[82:83]
	v_fma_f64 v[82:83], v[153:154], s[20:21], -v[82:83]
	v_fma_f64 v[44:45], v[44:45], s[14:15], v[32:33]
	v_fma_f64 v[74:75], v[74:75], s[14:15], v[34:35]
	;; [unrolled: 1-line block ×4, first 2 shown]
	v_fma_f64 v[64:65], v[64:65], s[10:11], -v[110:111]
	v_fma_f64 v[66:67], v[66:67], s[10:11], -v[155:156]
	;; [unrolled: 1-line block ×5, first 2 shown]
	v_fma_f64 v[68:69], v[68:69], s[14:15], v[28:29]
	v_fma_f64 v[110:111], v[153:154], s[18:19], -v[157:158]
	v_fma_f64 v[102:103], v[98:99], s[26:27], v[102:103]
	v_fma_f64 v[78:79], v[96:97], s[26:27], v[78:79]
	;; [unrolled: 1-line block ×7, first 2 shown]
	v_add_f64_e32 v[58:59], v[46:47], v[52:53]
	v_add_f64_e32 v[76:77], v[76:77], v[88:89]
	;; [unrolled: 1-line block ×5, first 2 shown]
	v_fma_f64 v[98:99], v[54:55], s[26:27], v[133:134]
	v_add_f64_e32 v[52:53], v[129:130], v[52:53]
	v_fma_f64 v[133:134], v[54:55], s[26:27], v[48:49]
	v_fma_f64 v[139:140], v[72:73], s[26:27], v[50:51]
	;; [unrolled: 1-line block ×5, first 2 shown]
	v_add_f64_e32 v[119:120], v[119:120], v[44:45]
	v_add_f64_e32 v[104:105], v[104:105], v[74:75]
	;; [unrolled: 1-line block ×6, first 2 shown]
	v_fma_f64 v[135:136], v[60:61], s[26:27], v[135:136]
	v_fma_f64 v[137:138], v[62:63], s[26:27], v[137:138]
	;; [unrolled: 1-line block ×3, first 2 shown]
	v_add_f64_e32 v[149:150], v[106:107], v[68:69]
	v_fma_f64 v[147:148], v[62:63], s[26:27], v[42:43]
	v_add_f64_e32 v[106:107], v[80:81], v[68:69]
	v_fma_f64 v[141:142], v[60:61], s[26:27], v[64:65]
	v_add_f64_e32 v[121:122], v[121:122], v[70:71]
	v_add_f64_e32 v[151:152], v[82:83], v[70:71]
	v_fma_f64 v[143:144], v[62:63], s[26:27], v[66:67]
	v_add_f64_e32 v[108:109], v[108:109], v[68:69]
	v_add_f64_e32 v[110:111], v[110:111], v[70:71]
	;; [unrolled: 1-line block ×3, first 2 shown]
	v_add_f64_e64 v[46:47], v[76:77], -v[96:97]
	v_add_f64_e64 v[42:43], v[94:95], -v[78:79]
	;; [unrolled: 1-line block ×4, first 2 shown]
	v_add_f64_e32 v[58:59], v[96:97], v[76:77]
	v_add_f64_e64 v[48:49], v[52:53], -v[102:103]
	v_add_f64_e32 v[52:53], v[102:103], v[52:53]
	v_add_f64_e32 v[62:63], v[78:79], v[94:95]
	v_add_f64_e64 v[60:61], v[92:93], -v[90:91]
	v_add_f64_e32 v[40:41], v[90:91], v[92:93]
	v_add_f64_e32 v[50:51], v[100:101], v[88:89]
	;; [unrolled: 1-line block ×3, first 2 shown]
	v_add_f64_e64 v[70:71], v[104:105], -v[133:134]
	v_add_f64_e32 v[76:77], v[86:87], v[127:128]
	v_add_f64_e64 v[78:79], v[131:132], -v[84:85]
	v_add_f64_e64 v[72:73], v[127:128], -v[86:87]
	v_add_f64_e32 v[74:75], v[84:85], v[131:132]
	v_add_f64_e64 v[84:85], v[123:124], -v[129:130]
	v_add_f64_e32 v[86:87], v[98:99], v[125:126]
	v_add_f64_e32 v[64:65], v[129:130], v[123:124]
	v_add_f64_e64 v[66:67], v[125:126], -v[98:99]
	v_add_f64_e32 v[88:89], v[137:138], v[149:150]
	v_add_f64_e32 v[92:93], v[147:148], v[106:107]
	v_add_f64_e64 v[80:81], v[119:120], -v[139:140]
	v_add_f64_e64 v[90:91], v[121:122], -v[135:136]
	;; [unrolled: 1-line block ×3, first 2 shown]
	v_add_f64_e32 v[82:83], v[133:134], v[104:105]
	v_add_f64_e64 v[96:97], v[108:109], -v[143:144]
	v_add_f64_e32 v[98:99], v[141:142], v[110:111]
	v_add_f64_e32 v[100:101], v[143:144], v[108:109]
	v_add_f64_e64 v[102:103], v[110:111], -v[141:142]
	v_add_f64_e64 v[104:105], v[106:107], -v[147:148]
	v_add_f64_e32 v[106:107], v[145:146], v[151:152]
	v_add_f64_e64 v[108:109], v[149:150], -v[137:138]
	v_add_f64_e32 v[110:111], v[135:136], v[121:122]
	ds_store_b128 v118, v[36:39]
	ds_store_b128 v118, v[32:35] offset:1008
	ds_store_b128 v118, v[44:47] offset:6912
	;; [unrolled: 1-line block ×20, first 2 shown]
	s_and_saveexec_b32 s1, s0
	s_cbranch_execz .LBB0_23
; %bb.22:
	v_subrev_nc_u32_e32 v28, 27, v112
	v_mov_b32_e32 v29, 0
	s_delay_alu instid0(VALU_DEP_2) | instskip(NEXT) | instid1(VALU_DEP_1)
	v_cndmask_b32_e64 v28, v28, v113, s0
	v_mul_i32_i24_e32 v28, 6, v28
	s_delay_alu instid0(VALU_DEP_1) | instskip(NEXT) | instid1(VALU_DEP_1)
	v_lshlrev_b64_e32 v[28:29], 4, v[28:29]
	v_add_co_u32 v48, s0, s8, v28
	s_wait_alu 0xf1ff
	s_delay_alu instid0(VALU_DEP_2)
	v_add_co_ci_u32_e64 v49, s0, s9, v29, s0
	s_clause 0x5
	global_load_b128 v[28:31], v[48:49], off offset:3504
	global_load_b128 v[32:35], v[48:49], off offset:3424
	;; [unrolled: 1-line block ×6, first 2 shown]
	s_wait_loadcnt 0x5
	v_mul_f64_e32 v[52:53], v[24:25], v[30:31]
	s_wait_loadcnt 0x4
	v_mul_f64_e32 v[54:55], v[4:5], v[34:35]
	;; [unrolled: 2-line block ×4, first 2 shown]
	v_mul_f64_e32 v[34:35], v[6:7], v[34:35]
	v_mul_f64_e32 v[30:31], v[26:27], v[30:31]
	;; [unrolled: 1-line block ×4, first 2 shown]
	s_wait_loadcnt 0x1
	v_mul_f64_e32 v[60:61], v[18:19], v[46:47]
	s_wait_loadcnt 0x0
	v_mul_f64_e32 v[62:63], v[14:15], v[50:51]
	v_mul_f64_e32 v[50:51], v[12:13], v[50:51]
	v_mul_f64_e32 v[46:47], v[16:17], v[46:47]
	v_fma_f64 v[26:27], v[26:27], v[28:29], -v[52:53]
	v_fma_f64 v[6:7], v[6:7], v[32:33], -v[54:55]
	;; [unrolled: 1-line block ×4, first 2 shown]
	v_fma_f64 v[4:5], v[4:5], v[32:33], v[34:35]
	v_fma_f64 v[24:25], v[24:25], v[28:29], v[30:31]
	;; [unrolled: 1-line block ×6, first 2 shown]
	v_fma_f64 v[14:15], v[14:15], v[48:49], -v[50:51]
	v_fma_f64 v[18:19], v[18:19], v[44:45], -v[46:47]
	v_add_f64_e32 v[28:29], v[6:7], v[26:27]
	v_add_f64_e64 v[6:7], v[6:7], -v[26:27]
	v_add_f64_e32 v[30:31], v[10:11], v[22:23]
	v_add_f64_e64 v[10:11], v[10:11], -v[22:23]
	;; [unrolled: 2-line block ×4, first 2 shown]
	v_add_f64_e64 v[36:37], v[16:17], -v[12:13]
	v_add_f64_e32 v[12:13], v[12:13], v[16:17]
	v_add_f64_e32 v[20:21], v[14:15], v[18:19]
	v_add_f64_e64 v[14:15], v[18:19], -v[14:15]
	v_add_f64_e32 v[16:17], v[30:31], v[28:29]
	v_add_f64_e64 v[42:43], v[10:11], -v[6:7]
	;; [unrolled: 2-line block ×3, first 2 shown]
	v_add_f64_e64 v[22:23], v[36:37], -v[8:9]
	v_add_f64_e64 v[26:27], v[32:33], -v[12:13]
	;; [unrolled: 1-line block ×5, first 2 shown]
	v_add_f64_e32 v[8:9], v[36:37], v[8:9]
	v_add_f64_e32 v[10:11], v[14:15], v[10:11]
	v_add_f64_e64 v[14:15], v[6:7], -v[14:15]
	v_add_f64_e64 v[28:29], v[30:31], -v[28:29]
	;; [unrolled: 1-line block ×3, first 2 shown]
	v_add_f64_e32 v[16:17], v[20:21], v[16:17]
	v_add_f64_e64 v[20:21], v[20:21], -v[30:31]
	v_mul_f64_e32 v[46:47], s[10:11], v[42:43]
	v_add_f64_e32 v[18:19], v[12:13], v[18:19]
	v_add_f64_e64 v[12:13], v[12:13], -v[34:35]
	v_mul_f64_e32 v[22:23], s[16:17], v[22:23]
	v_mul_f64_e32 v[26:27], s[12:13], v[26:27]
	;; [unrolled: 1-line block ×5, first 2 shown]
	v_add_f64_e32 v[4:5], v[8:9], v[4:5]
	v_add_f64_e32 v[6:7], v[10:11], v[6:7]
	v_add_f64_e32 v[2:3], v[2:3], v[16:17]
	v_mul_f64_e32 v[30:31], s[4:5], v[20:21]
	v_add_f64_e32 v[0:1], v[0:1], v[18:19]
	v_mul_f64_e32 v[34:35], s[4:5], v[12:13]
	v_fma_f64 v[8:9], v[44:45], s[22:23], v[22:23]
	v_fma_f64 v[12:13], v[12:13], s[4:5], v[26:27]
	;; [unrolled: 1-line block ×3, first 2 shown]
	v_fma_f64 v[20:21], v[44:45], s[24:25], -v[36:37]
	v_fma_f64 v[22:23], v[38:39], s[10:11], -v[22:23]
	v_fma_f64 v[24:25], v[28:29], s[20:21], -v[24:25]
	v_fma_f64 v[26:27], v[32:33], s[20:21], -v[26:27]
	v_fma_f64 v[36:37], v[42:43], s[10:11], -v[40:41]
	v_fma_f64 v[16:17], v[16:17], s[14:15], v[2:3]
	v_fma_f64 v[28:29], v[28:29], s[18:19], -v[30:31]
	v_fma_f64 v[30:31], v[14:15], s[22:23], v[40:41]
	v_fma_f64 v[14:15], v[14:15], s[24:25], -v[46:47]
	;; [unrolled: 2-line block ×3, first 2 shown]
	v_fma_f64 v[8:9], v[4:5], s[26:27], v[8:9]
	v_fma_f64 v[20:21], v[4:5], s[26:27], v[20:21]
	;; [unrolled: 1-line block ×4, first 2 shown]
	v_add_f64_e32 v[34:35], v[10:11], v[16:17]
	v_add_f64_e32 v[22:23], v[24:25], v[16:17]
	;; [unrolled: 1-line block ×3, first 2 shown]
	v_fma_f64 v[28:29], v[6:7], s[26:27], v[30:31]
	v_add_f64_e32 v[38:39], v[12:13], v[18:19]
	v_fma_f64 v[30:31], v[6:7], s[26:27], v[14:15]
	v_add_f64_e32 v[40:41], v[26:27], v[18:19]
	v_add_f64_e32 v[12:13], v[32:33], v[18:19]
	v_add_f64_e64 v[26:27], v[34:35], -v[8:9]
	v_add_f64_e32 v[10:11], v[20:21], v[22:23]
	v_add_f64_e64 v[22:23], v[22:23], -v[20:21]
	v_add_f64_e64 v[14:15], v[16:17], -v[4:5]
	v_add_f64_e32 v[24:25], v[28:29], v[38:39]
	v_add_f64_e32 v[18:19], v[4:5], v[16:17]
	;; [unrolled: 1-line block ×3, first 2 shown]
	v_add_f64_e64 v[16:17], v[12:13], -v[36:37]
	v_add_f64_e32 v[12:13], v[36:37], v[12:13]
	v_add_f64_e32 v[6:7], v[8:9], v[34:35]
	v_add_f64_e64 v[8:9], v[40:41], -v[30:31]
	v_add_f64_e64 v[4:5], v[38:39], -v[28:29]
	ds_store_b128 v118, v[0:3] offset:3024
	ds_store_b128 v118, v[24:27] offset:6480
	;; [unrolled: 1-line block ×7, first 2 shown]
.LBB0_23:
	s_wait_alu 0xfffe
	s_or_b32 exec_lo, exec_lo, s1
	global_wb scope:SCOPE_SE
	s_wait_dscnt 0x0
	s_barrier_signal -1
	s_barrier_wait -1
	global_inv scope:SCOPE_SE
	s_and_saveexec_b32 s0, vcc_lo
	s_cbranch_execz .LBB0_25
; %bb.24:
	v_mul_lo_u32 v2, s3, v116
	v_mul_lo_u32 v3, s2, v117
	v_mad_co_u64_u32 v[0:1], null, s2, v116, 0
	v_lshl_add_u32 v34, v112, 4, 0
	v_dual_mov_b32 v113, 0 :: v_dual_add_nc_u32 v12, 63, v112
	v_lshlrev_b64_e32 v[8:9], 4, v[114:115]
	v_add_nc_u32_e32 v22, 0x13b, v112
	s_delay_alu instid0(VALU_DEP_3) | instskip(SKIP_4) | instid1(VALU_DEP_4)
	v_dual_mov_b32 v25, v113 :: v_dual_add_nc_u32 v24, 0x17a, v112
	v_add3_u32 v1, v1, v3, v2
	v_mov_b32_e32 v13, v113
	v_lshlrev_b64_e32 v[14:15], 4, v[112:113]
	v_mov_b32_e32 v23, v113
	v_lshlrev_b64_e32 v[10:11], 4, v[0:1]
	ds_load_b128 v[0:3], v34
	ds_load_b128 v[4:7], v34 offset:1008
	v_lshlrev_b64_e32 v[22:23], 4, v[22:23]
	v_add_co_u32 v10, vcc_lo, s6, v10
	s_wait_alu 0xfffd
	v_add_co_ci_u32_e32 v11, vcc_lo, s7, v11, vcc_lo
	s_delay_alu instid0(VALU_DEP_2) | instskip(SKIP_1) | instid1(VALU_DEP_2)
	v_add_co_u32 v36, vcc_lo, v10, v8
	s_wait_alu 0xfffd
	v_add_co_ci_u32_e32 v37, vcc_lo, v11, v9, vcc_lo
	v_lshlrev_b64_e32 v[8:9], 4, v[12:13]
	v_add_nc_u32_e32 v12, 0x7e, v112
	v_add_co_u32 v10, vcc_lo, v36, v14
	s_wait_alu 0xfffd
	v_add_co_ci_u32_e32 v11, vcc_lo, v37, v15, vcc_lo
	s_delay_alu instid0(VALU_DEP_4)
	v_add_co_u32 v8, vcc_lo, v36, v8
	s_wait_alu 0xfffd
	v_add_co_ci_u32_e32 v9, vcc_lo, v37, v9, vcc_lo
	s_wait_dscnt 0x1
	global_store_b128 v[10:11], v[0:3], off
	s_wait_dscnt 0x0
	global_store_b128 v[8:9], v[4:7], off
	v_lshlrev_b64_e32 v[0:1], 4, v[12:13]
	v_dual_mov_b32 v9, v113 :: v_dual_add_nc_u32 v8, 0xbd, v112
	v_dual_mov_b32 v11, v113 :: v_dual_add_nc_u32 v10, 0xfc, v112
	s_delay_alu instid0(VALU_DEP_3) | instskip(SKIP_1) | instid1(VALU_DEP_4)
	v_add_co_u32 v16, vcc_lo, v36, v0
	s_wait_alu 0xfffd
	v_add_co_ci_u32_e32 v17, vcc_lo, v37, v1, vcc_lo
	ds_load_b128 v[0:3], v34 offset:2016
	ds_load_b128 v[4:7], v34 offset:3024
	v_lshlrev_b64_e32 v[18:19], 4, v[8:9]
	v_lshlrev_b64_e32 v[20:21], 4, v[10:11]
	ds_load_b128 v[8:11], v34 offset:4032
	ds_load_b128 v[12:15], v34 offset:5040
	v_add_co_u32 v18, vcc_lo, v36, v18
	s_wait_alu 0xfffd
	v_add_co_ci_u32_e32 v19, vcc_lo, v37, v19, vcc_lo
	v_add_co_u32 v20, vcc_lo, v36, v20
	s_wait_alu 0xfffd
	v_add_co_ci_u32_e32 v21, vcc_lo, v37, v21, vcc_lo
	;; [unrolled: 3-line block ×3, first 2 shown]
	s_wait_dscnt 0x3
	global_store_b128 v[16:17], v[0:3], off
	s_wait_dscnt 0x2
	global_store_b128 v[18:19], v[4:7], off
	;; [unrolled: 2-line block ×4, first 2 shown]
	v_lshlrev_b64_e32 v[0:1], 4, v[24:25]
	v_dual_mov_b32 v9, v113 :: v_dual_add_nc_u32 v8, 0x1b9, v112
	v_dual_mov_b32 v11, v113 :: v_dual_add_nc_u32 v10, 0x1f8, v112
	;; [unrolled: 1-line block ×3, first 2 shown]
	s_delay_alu instid0(VALU_DEP_4)
	v_add_co_u32 v16, vcc_lo, v36, v0
	s_wait_alu 0xfffd
	v_add_co_ci_u32_e32 v17, vcc_lo, v37, v1, vcc_lo
	ds_load_b128 v[0:3], v34 offset:6048
	ds_load_b128 v[4:7], v34 offset:7056
	v_lshlrev_b64_e32 v[18:19], 4, v[8:9]
	v_lshlrev_b64_e32 v[20:21], 4, v[10:11]
	ds_load_b128 v[8:11], v34 offset:8064
	ds_load_b128 v[12:15], v34 offset:9072
	v_lshlrev_b64_e32 v[22:23], 4, v[22:23]
	v_add_nc_u32_e32 v24, 0x276, v112
	v_add_co_u32 v18, vcc_lo, v36, v18
	s_wait_alu 0xfffd
	v_add_co_ci_u32_e32 v19, vcc_lo, v37, v19, vcc_lo
	v_add_co_u32 v20, vcc_lo, v36, v20
	s_wait_alu 0xfffd
	v_add_co_ci_u32_e32 v21, vcc_lo, v37, v21, vcc_lo
	;; [unrolled: 3-line block ×3, first 2 shown]
	s_wait_dscnt 0x3
	global_store_b128 v[16:17], v[0:3], off
	s_wait_dscnt 0x2
	global_store_b128 v[18:19], v[4:7], off
	;; [unrolled: 2-line block ×4, first 2 shown]
	v_mov_b32_e32 v9, v113
	v_lshlrev_b64_e32 v[0:1], 4, v[24:25]
	v_dual_mov_b32 v11, v113 :: v_dual_add_nc_u32 v8, 0x2b5, v112
	v_dual_mov_b32 v23, v113 :: v_dual_add_nc_u32 v10, 0x2f4, v112
	v_add_nc_u32_e32 v22, 0x333, v112
	s_delay_alu instid0(VALU_DEP_4)
	v_add_co_u32 v16, vcc_lo, v36, v0
	s_wait_alu 0xfffd
	v_add_co_ci_u32_e32 v17, vcc_lo, v37, v1, vcc_lo
	ds_load_b128 v[0:3], v34 offset:10080
	ds_load_b128 v[4:7], v34 offset:11088
	v_lshlrev_b64_e32 v[18:19], 4, v[8:9]
	v_lshlrev_b64_e32 v[20:21], 4, v[10:11]
	ds_load_b128 v[8:11], v34 offset:12096
	ds_load_b128 v[12:15], v34 offset:13104
	v_lshlrev_b64_e32 v[22:23], 4, v[22:23]
	v_add_nc_u32_e32 v24, 0x372, v112
	v_add_co_u32 v18, vcc_lo, v36, v18
	s_wait_alu 0xfffd
	v_add_co_ci_u32_e32 v19, vcc_lo, v37, v19, vcc_lo
	v_add_co_u32 v20, vcc_lo, v36, v20
	s_wait_alu 0xfffd
	v_add_co_ci_u32_e32 v21, vcc_lo, v37, v21, vcc_lo
	;; [unrolled: 3-line block ×3, first 2 shown]
	s_wait_dscnt 0x3
	global_store_b128 v[16:17], v[0:3], off
	s_wait_dscnt 0x2
	global_store_b128 v[18:19], v[4:7], off
	;; [unrolled: 2-line block ×4, first 2 shown]
	v_mov_b32_e32 v11, v113
	v_lshlrev_b64_e32 v[0:1], 4, v[24:25]
	v_dual_mov_b32 v23, v113 :: v_dual_add_nc_u32 v8, 0x3b1, v112
	v_dual_mov_b32 v9, v113 :: v_dual_add_nc_u32 v10, 0x3f0, v112
	v_add_nc_u32_e32 v22, 0x42f, v112
	s_delay_alu instid0(VALU_DEP_4)
	v_add_co_u32 v16, vcc_lo, v36, v0
	s_wait_alu 0xfffd
	v_add_co_ci_u32_e32 v17, vcc_lo, v37, v1, vcc_lo
	ds_load_b128 v[0:3], v34 offset:14112
	ds_load_b128 v[4:7], v34 offset:15120
	v_lshlrev_b64_e32 v[18:19], 4, v[8:9]
	v_lshlrev_b64_e32 v[20:21], 4, v[10:11]
	ds_load_b128 v[8:11], v34 offset:16128
	ds_load_b128 v[12:15], v34 offset:17136
	v_lshlrev_b64_e32 v[22:23], 4, v[22:23]
	v_add_nc_u32_e32 v24, 0x46e, v112
	v_add_co_u32 v18, vcc_lo, v36, v18
	s_wait_alu 0xfffd
	v_add_co_ci_u32_e32 v19, vcc_lo, v37, v19, vcc_lo
	v_add_co_u32 v20, vcc_lo, v36, v20
	s_wait_alu 0xfffd
	v_add_co_ci_u32_e32 v21, vcc_lo, v37, v21, vcc_lo
	v_add_co_u32 v22, vcc_lo, v36, v22
	s_wait_dscnt 0x3
	global_store_b128 v[16:17], v[0:3], off
	s_wait_dscnt 0x2
	global_store_b128 v[18:19], v[4:7], off
	v_dual_mov_b32 v17, v113 :: v_dual_add_nc_u32 v2, 0x4ad, v112
	v_mov_b32_e32 v19, v113
	v_mov_b32_e32 v3, v113
	s_wait_alu 0xfffd
	v_add_co_ci_u32_e32 v23, vcc_lo, v37, v23, vcc_lo
	v_lshlrev_b64_e32 v[0:1], 4, v[24:25]
	s_wait_dscnt 0x1
	global_store_b128 v[20:21], v[8:11], off
	s_wait_dscnt 0x0
	global_store_b128 v[22:23], v[12:15], off
	v_lshlrev_b64_e32 v[8:9], 4, v[2:3]
	v_dual_mov_b32 v11, v113 :: v_dual_add_nc_u32 v10, 0x4ec, v112
	v_add_co_u32 v24, vcc_lo, v36, v0
	s_wait_alu 0xfffd
	v_add_co_ci_u32_e32 v25, vcc_lo, v37, v1, vcc_lo
	s_delay_alu instid0(VALU_DEP_4)
	v_add_co_u32 v26, vcc_lo, v36, v8
	s_wait_alu 0xfffd
	v_add_co_ci_u32_e32 v27, vcc_lo, v37, v9, vcc_lo
	v_lshlrev_b64_e32 v[8:9], 4, v[10:11]
	v_add_nc_u32_e32 v16, 0x52b, v112
	v_add_nc_u32_e32 v18, 0x56a, v112
	ds_load_b128 v[0:3], v34 offset:18144
	ds_load_b128 v[4:7], v34 offset:19152
	v_add_nc_u32_e32 v112, 0x5a9, v112
	v_add_co_u32 v28, vcc_lo, v36, v8
	s_wait_alu 0xfffd
	v_add_co_ci_u32_e32 v29, vcc_lo, v37, v9, vcc_lo
	ds_load_b128 v[8:11], v34 offset:20160
	ds_load_b128 v[12:15], v34 offset:21168
	v_lshlrev_b64_e32 v[30:31], 4, v[16:17]
	v_lshlrev_b64_e32 v[32:33], 4, v[18:19]
	ds_load_b128 v[16:19], v34 offset:22176
	ds_load_b128 v[20:23], v34 offset:23184
	v_lshlrev_b64_e32 v[34:35], 4, v[112:113]
	v_add_co_u32 v30, vcc_lo, v36, v30
	s_wait_alu 0xfffd
	v_add_co_ci_u32_e32 v31, vcc_lo, v37, v31, vcc_lo
	v_add_co_u32 v32, vcc_lo, v36, v32
	s_wait_alu 0xfffd
	v_add_co_ci_u32_e32 v33, vcc_lo, v37, v33, vcc_lo
	;; [unrolled: 3-line block ×3, first 2 shown]
	s_wait_dscnt 0x5
	global_store_b128 v[24:25], v[0:3], off
	s_wait_dscnt 0x4
	global_store_b128 v[26:27], v[4:7], off
	;; [unrolled: 2-line block ×6, first 2 shown]
.LBB0_25:
	s_nop 0
	s_sendmsg sendmsg(MSG_DEALLOC_VGPRS)
	s_endpgm
	.section	.rodata,"a",@progbits
	.p2align	6, 0x0
	.amdhsa_kernel fft_rtc_back_len1512_factors_2_2_2_3_3_3_7_wgs_63_tpt_63_halfLds_dp_op_CI_CI_unitstride_sbrr_C2R_dirReg
		.amdhsa_group_segment_fixed_size 0
		.amdhsa_private_segment_fixed_size 0
		.amdhsa_kernarg_size 104
		.amdhsa_user_sgpr_count 2
		.amdhsa_user_sgpr_dispatch_ptr 0
		.amdhsa_user_sgpr_queue_ptr 0
		.amdhsa_user_sgpr_kernarg_segment_ptr 1
		.amdhsa_user_sgpr_dispatch_id 0
		.amdhsa_user_sgpr_private_segment_size 0
		.amdhsa_wavefront_size32 1
		.amdhsa_uses_dynamic_stack 0
		.amdhsa_enable_private_segment 0
		.amdhsa_system_sgpr_workgroup_id_x 1
		.amdhsa_system_sgpr_workgroup_id_y 0
		.amdhsa_system_sgpr_workgroup_id_z 0
		.amdhsa_system_sgpr_workgroup_info 0
		.amdhsa_system_vgpr_workitem_id 0
		.amdhsa_next_free_vgpr 210
		.amdhsa_next_free_sgpr 39
		.amdhsa_reserve_vcc 1
		.amdhsa_float_round_mode_32 0
		.amdhsa_float_round_mode_16_64 0
		.amdhsa_float_denorm_mode_32 3
		.amdhsa_float_denorm_mode_16_64 3
		.amdhsa_fp16_overflow 0
		.amdhsa_workgroup_processor_mode 1
		.amdhsa_memory_ordered 1
		.amdhsa_forward_progress 0
		.amdhsa_round_robin_scheduling 0
		.amdhsa_exception_fp_ieee_invalid_op 0
		.amdhsa_exception_fp_denorm_src 0
		.amdhsa_exception_fp_ieee_div_zero 0
		.amdhsa_exception_fp_ieee_overflow 0
		.amdhsa_exception_fp_ieee_underflow 0
		.amdhsa_exception_fp_ieee_inexact 0
		.amdhsa_exception_int_div_zero 0
	.end_amdhsa_kernel
	.text
.Lfunc_end0:
	.size	fft_rtc_back_len1512_factors_2_2_2_3_3_3_7_wgs_63_tpt_63_halfLds_dp_op_CI_CI_unitstride_sbrr_C2R_dirReg, .Lfunc_end0-fft_rtc_back_len1512_factors_2_2_2_3_3_3_7_wgs_63_tpt_63_halfLds_dp_op_CI_CI_unitstride_sbrr_C2R_dirReg
                                        ; -- End function
	.section	.AMDGPU.csdata,"",@progbits
; Kernel info:
; codeLenInByte = 20624
; NumSgprs: 41
; NumVgprs: 210
; ScratchSize: 0
; MemoryBound: 0
; FloatMode: 240
; IeeeMode: 1
; LDSByteSize: 0 bytes/workgroup (compile time only)
; SGPRBlocks: 5
; VGPRBlocks: 26
; NumSGPRsForWavesPerEU: 41
; NumVGPRsForWavesPerEU: 210
; Occupancy: 7
; WaveLimiterHint : 1
; COMPUTE_PGM_RSRC2:SCRATCH_EN: 0
; COMPUTE_PGM_RSRC2:USER_SGPR: 2
; COMPUTE_PGM_RSRC2:TRAP_HANDLER: 0
; COMPUTE_PGM_RSRC2:TGID_X_EN: 1
; COMPUTE_PGM_RSRC2:TGID_Y_EN: 0
; COMPUTE_PGM_RSRC2:TGID_Z_EN: 0
; COMPUTE_PGM_RSRC2:TIDIG_COMP_CNT: 0
	.text
	.p2alignl 7, 3214868480
	.fill 96, 4, 3214868480
	.type	__hip_cuid_c1aec527dc64029b,@object ; @__hip_cuid_c1aec527dc64029b
	.section	.bss,"aw",@nobits
	.globl	__hip_cuid_c1aec527dc64029b
__hip_cuid_c1aec527dc64029b:
	.byte	0                               ; 0x0
	.size	__hip_cuid_c1aec527dc64029b, 1

	.ident	"AMD clang version 19.0.0git (https://github.com/RadeonOpenCompute/llvm-project roc-6.4.0 25133 c7fe45cf4b819c5991fe208aaa96edf142730f1d)"
	.section	".note.GNU-stack","",@progbits
	.addrsig
	.addrsig_sym __hip_cuid_c1aec527dc64029b
	.amdgpu_metadata
---
amdhsa.kernels:
  - .args:
      - .actual_access:  read_only
        .address_space:  global
        .offset:         0
        .size:           8
        .value_kind:     global_buffer
      - .offset:         8
        .size:           8
        .value_kind:     by_value
      - .actual_access:  read_only
        .address_space:  global
        .offset:         16
        .size:           8
        .value_kind:     global_buffer
      - .actual_access:  read_only
        .address_space:  global
        .offset:         24
        .size:           8
        .value_kind:     global_buffer
      - .actual_access:  read_only
        .address_space:  global
        .offset:         32
        .size:           8
        .value_kind:     global_buffer
      - .offset:         40
        .size:           8
        .value_kind:     by_value
      - .actual_access:  read_only
        .address_space:  global
        .offset:         48
        .size:           8
        .value_kind:     global_buffer
      - .actual_access:  read_only
        .address_space:  global
        .offset:         56
        .size:           8
        .value_kind:     global_buffer
      - .offset:         64
        .size:           4
        .value_kind:     by_value
      - .actual_access:  read_only
        .address_space:  global
        .offset:         72
        .size:           8
        .value_kind:     global_buffer
      - .actual_access:  read_only
        .address_space:  global
        .offset:         80
        .size:           8
        .value_kind:     global_buffer
      - .actual_access:  read_only
        .address_space:  global
        .offset:         88
        .size:           8
        .value_kind:     global_buffer
      - .actual_access:  write_only
        .address_space:  global
        .offset:         96
        .size:           8
        .value_kind:     global_buffer
    .group_segment_fixed_size: 0
    .kernarg_segment_align: 8
    .kernarg_segment_size: 104
    .language:       OpenCL C
    .language_version:
      - 2
      - 0
    .max_flat_workgroup_size: 63
    .name:           fft_rtc_back_len1512_factors_2_2_2_3_3_3_7_wgs_63_tpt_63_halfLds_dp_op_CI_CI_unitstride_sbrr_C2R_dirReg
    .private_segment_fixed_size: 0
    .sgpr_count:     41
    .sgpr_spill_count: 0
    .symbol:         fft_rtc_back_len1512_factors_2_2_2_3_3_3_7_wgs_63_tpt_63_halfLds_dp_op_CI_CI_unitstride_sbrr_C2R_dirReg.kd
    .uniform_work_group_size: 1
    .uses_dynamic_stack: false
    .vgpr_count:     210
    .vgpr_spill_count: 0
    .wavefront_size: 32
    .workgroup_processor_mode: 1
amdhsa.target:   amdgcn-amd-amdhsa--gfx1201
amdhsa.version:
  - 1
  - 2
...

	.end_amdgpu_metadata
